;; amdgpu-corpus repo=ROCm/rocFFT kind=compiled arch=gfx1201 opt=O3
	.text
	.amdgcn_target "amdgcn-amd-amdhsa--gfx1201"
	.amdhsa_code_object_version 6
	.protected	bluestein_single_back_len264_dim1_dp_op_CI_CI ; -- Begin function bluestein_single_back_len264_dim1_dp_op_CI_CI
	.globl	bluestein_single_back_len264_dim1_dp_op_CI_CI
	.p2align	8
	.type	bluestein_single_back_len264_dim1_dp_op_CI_CI,@function
bluestein_single_back_len264_dim1_dp_op_CI_CI: ; @bluestein_single_back_len264_dim1_dp_op_CI_CI
; %bb.0:
	s_load_b128 s[16:19], s[0:1], 0x28
	v_mul_u32_u24_e32 v1, 0x7c2, v0
	s_mov_b32 s2, exec_lo
	s_delay_alu instid0(VALU_DEP_1) | instskip(NEXT) | instid1(VALU_DEP_1)
	v_lshrrev_b32_e32 v1, 16, v1
	v_mad_co_u64_u32 v[140:141], null, ttmp9, 7, v[1:2]
	v_mov_b32_e32 v141, 0
	s_wait_kmcnt 0x0
	s_delay_alu instid0(VALU_DEP_1)
	v_cmpx_gt_u64_e64 s[16:17], v[140:141]
	s_cbranch_execz .LBB0_18
; %bb.1:
	s_clause 0x1
	s_load_b128 s[4:7], s[0:1], 0x18
	s_load_b128 s[8:11], s[0:1], 0x0
	v_mul_lo_u16 v1, v1, 33
	v_mul_hi_u32 v97, 0x24924925, v140
	s_delay_alu instid0(VALU_DEP_2) | instskip(NEXT) | instid1(VALU_DEP_2)
	v_sub_nc_u16 v56, v0, v1
	v_sub_nc_u32_e32 v98, v140, v97
	s_delay_alu instid0(VALU_DEP_2) | instskip(NEXT) | instid1(VALU_DEP_2)
	v_and_b32_e32 v163, 0xffff, v56
	v_lshrrev_b32_e32 v98, 1, v98
	s_delay_alu instid0(VALU_DEP_2) | instskip(SKIP_2) | instid1(VALU_DEP_2)
	v_lshlrev_b32_e32 v153, 4, v163
	s_wait_kmcnt 0x0
	s_load_b128 s[12:15], s[4:5], 0x0
	v_add_nc_u32_e32 v97, v98, v97
	s_delay_alu instid0(VALU_DEP_1) | instskip(SKIP_4) | instid1(VALU_DEP_1)
	v_lshrrev_b32_e32 v97, 2, v97
	s_wait_kmcnt 0x0
	v_mad_co_u64_u32 v[0:1], null, s14, v140, 0
	v_mad_co_u64_u32 v[2:3], null, s12, v163, 0
	s_mul_u64 s[2:3], s[12:13], 0x210
	v_mad_co_u64_u32 v[4:5], null, s15, v140, v[1:2]
	s_delay_alu instid0(VALU_DEP_1) | instskip(SKIP_2) | instid1(VALU_DEP_1)
	v_mad_co_u64_u32 v[5:6], null, s13, v163, v[3:4]
	v_mov_b32_e32 v1, v4
	s_mov_b32 s13, 0x3fe6a09e
	v_lshlrev_b64_e32 v[0:1], 4, v[0:1]
	s_delay_alu instid0(VALU_DEP_3) | instskip(NEXT) | instid1(VALU_DEP_2)
	v_mov_b32_e32 v3, v5
	v_add_co_u32 v0, vcc_lo, s18, v0
	s_delay_alu instid0(VALU_DEP_2) | instskip(NEXT) | instid1(VALU_DEP_4)
	v_lshlrev_b64_e32 v[2:3], 4, v[2:3]
	v_add_co_ci_u32_e32 v1, vcc_lo, s19, v1, vcc_lo
	s_delay_alu instid0(VALU_DEP_2) | instskip(SKIP_1) | instid1(VALU_DEP_2)
	v_add_co_u32 v24, vcc_lo, v0, v2
	s_wait_alu 0xfffd
	v_add_co_ci_u32_e32 v25, vcc_lo, v1, v3, vcc_lo
	s_clause 0x1
	global_load_b128 v[0:3], v153, s[8:9]
	global_load_b128 v[4:7], v153, s[8:9] offset:528
	v_add_co_u32 v26, vcc_lo, v24, s2
	s_wait_alu 0xfffd
	v_add_co_ci_u32_e32 v27, vcc_lo, s3, v25, vcc_lo
	s_clause 0x1
	global_load_b128 v[8:11], v153, s[8:9] offset:1056
	global_load_b128 v[12:15], v153, s[8:9] offset:1584
	v_add_co_u32 v28, vcc_lo, v26, s2
	s_wait_alu 0xfffd
	v_add_co_ci_u32_e32 v29, vcc_lo, s3, v27, vcc_lo
	s_clause 0x1
	global_load_b128 v[16:19], v153, s[8:9] offset:2112
	global_load_b128 v[20:23], v153, s[8:9] offset:2640
	v_add_co_u32 v30, vcc_lo, v28, s2
	s_wait_alu 0xfffd
	v_add_co_ci_u32_e32 v31, vcc_lo, s3, v29, vcc_lo
	global_load_b128 v[32:35], v[24:25], off
	v_add_co_u32 v48, vcc_lo, v30, s2
	s_wait_alu 0xfffd
	v_add_co_ci_u32_e32 v49, vcc_lo, s3, v31, vcc_lo
	s_clause 0x1
	global_load_b128 v[36:39], v[26:27], off
	global_load_b128 v[40:43], v[28:29], off
	v_add_co_u32 v24, vcc_lo, v48, s2
	s_wait_alu 0xfffd
	v_add_co_ci_u32_e32 v25, vcc_lo, s3, v49, vcc_lo
	s_clause 0x1
	global_load_b128 v[44:47], v[30:31], off
	global_load_b128 v[48:51], v[48:49], off
	v_add_co_u32 v26, vcc_lo, v24, s2
	s_wait_alu 0xfffd
	v_add_co_ci_u32_e32 v27, vcc_lo, s3, v25, vcc_lo
	s_delay_alu instid0(VALU_DEP_2) | instskip(SKIP_1) | instid1(VALU_DEP_2)
	v_add_co_u32 v61, vcc_lo, v26, s2
	s_wait_alu 0xfffd
	v_add_co_ci_u32_e32 v62, vcc_lo, s3, v27, vcc_lo
	global_load_b128 v[52:55], v[24:25], off
	global_load_b128 v[57:60], v[26:27], off
	s_clause 0x1
	global_load_b128 v[24:27], v153, s[8:9] offset:3168
	global_load_b128 v[28:31], v153, s[8:9] offset:3696
	global_load_b128 v[61:64], v[61:62], off
	s_load_b128 s[4:7], s[6:7], 0x0
	s_mov_b32 s2, 0x667f3bcd
	s_mov_b32 s3, 0xbfe6a09e
	s_wait_alu 0xfffe
	s_mov_b32 s12, s2
	v_cmp_gt_u16_e32 vcc_lo, 22, v56
	s_wait_loadcnt 0xf
	scratch_store_b128 off, v[0:3], off offset:20 ; 16-byte Folded Spill
	s_wait_loadcnt 0xe
	scratch_store_b128 off, v[4:7], off offset:36 ; 16-byte Folded Spill
	;; [unrolled: 2-line block ×4, first 2 shown]
	s_wait_loadcnt 0x9
	v_mul_f64_e32 v[65:66], v[34:35], v[2:3]
	v_mul_f64_e32 v[67:68], v[32:33], v[2:3]
	s_wait_loadcnt 0x8
	v_mul_f64_e32 v[69:70], v[38:39], v[6:7]
	v_mul_f64_e32 v[71:72], v[36:37], v[6:7]
	;; [unrolled: 3-line block ×8, first 2 shown]
	v_fma_f64 v[32:33], v[32:33], v[0:1], v[65:66]
	v_fma_f64 v[34:35], v[34:35], v[0:1], -v[67:68]
	v_mul_lo_u32 v65, v97, 7
	v_fma_f64 v[36:37], v[36:37], v[4:5], v[69:70]
	v_fma_f64 v[38:39], v[38:39], v[4:5], -v[71:72]
	v_fma_f64 v[40:41], v[40:41], v[8:9], v[73:74]
	v_fma_f64 v[42:43], v[42:43], v[8:9], -v[75:76]
	;; [unrolled: 2-line block ×4, first 2 shown]
	v_sub_nc_u32_e32 v65, v140, v65
	v_fma_f64 v[52:53], v[52:53], v[20:21], v[85:86]
	v_fma_f64 v[54:55], v[54:55], v[20:21], -v[87:88]
	v_fma_f64 v[57:58], v[57:58], v[24:25], v[89:90]
	v_fma_f64 v[59:60], v[59:60], v[24:25], -v[91:92]
	v_fma_f64 v[61:62], v[61:62], v[28:29], v[93:94]
	v_fma_f64 v[63:64], v[63:64], v[28:29], -v[95:96]
	v_mul_u32_u24_e32 v65, 0x108, v65
                                        ; implicit-def: $vgpr88_vgpr89
	s_delay_alu instid0(VALU_DEP_1) | instskip(NEXT) | instid1(VALU_DEP_1)
	v_lshlrev_b32_e32 v164, 4, v65
	v_add_nc_u32_e32 v255, v153, v164
	ds_store_b128 v255, v[32:35]
	ds_store_b128 v255, v[36:39] offset:528
	ds_store_b128 v255, v[40:43] offset:1056
	;; [unrolled: 1-line block ×7, first 2 shown]
	global_wb scope:SCOPE_SE
	s_wait_storecnt_dscnt 0x0
	s_wait_kmcnt 0x0
	s_barrier_signal -1
	s_barrier_wait -1
	global_inv scope:SCOPE_SE
	ds_load_b128 v[32:35], v255 offset:2112
	ds_load_b128 v[36:39], v255
	ds_load_b128 v[40:43], v255 offset:1056
	ds_load_b128 v[44:47], v255 offset:3168
	;; [unrolled: 1-line block ×6, first 2 shown]
	global_wb scope:SCOPE_SE
	s_wait_dscnt 0x0
	s_barrier_signal -1
	s_barrier_wait -1
	global_inv scope:SCOPE_SE
	v_add_f64_e64 v[32:33], v[36:37], -v[32:33]
	v_add_f64_e64 v[34:35], v[38:39], -v[34:35]
	;; [unrolled: 1-line block ×8, first 2 shown]
	v_fma_f64 v[36:37], v[36:37], 2.0, -v[32:33]
	v_fma_f64 v[38:39], v[38:39], 2.0, -v[34:35]
	;; [unrolled: 1-line block ×6, first 2 shown]
	v_add_f64_e64 v[65:66], v[32:33], -v[46:47]
	v_add_f64_e32 v[67:68], v[34:35], v[44:45]
	v_fma_f64 v[44:45], v[57:58], 2.0, -v[61:62]
	v_fma_f64 v[46:47], v[59:60], 2.0, -v[63:64]
	v_add_f64_e64 v[57:58], v[52:53], -v[63:64]
	v_add_f64_e32 v[59:60], v[54:55], v[61:62]
	v_add_f64_e64 v[61:62], v[36:37], -v[40:41]
	v_add_f64_e64 v[63:64], v[38:39], -v[42:43]
	v_fma_f64 v[69:70], v[32:33], 2.0, -v[65:66]
	v_fma_f64 v[71:72], v[34:35], 2.0, -v[67:68]
	v_add_f64_e64 v[34:35], v[48:49], -v[44:45]
	v_add_f64_e64 v[32:33], v[50:51], -v[46:47]
	v_fma_f64 v[42:43], v[52:53], 2.0, -v[57:58]
	v_fma_f64 v[40:41], v[54:55], 2.0, -v[59:60]
	s_wait_alu 0xfffe
	v_fma_f64 v[44:45], v[57:58], s[12:13], v[65:66]
	v_fma_f64 v[46:47], v[59:60], s[12:13], v[67:68]
	v_fma_f64 v[73:74], v[36:37], 2.0, -v[61:62]
	v_fma_f64 v[75:76], v[38:39], 2.0, -v[63:64]
	;; [unrolled: 1-line block ×4, first 2 shown]
	v_fma_f64 v[48:49], v[42:43], s[2:3], v[69:70]
	v_fma_f64 v[50:51], v[40:41], s[2:3], v[71:72]
	v_add_f64_e64 v[32:33], v[61:62], -v[32:33]
	v_add_f64_e32 v[34:35], v[63:64], v[34:35]
	v_fma_f64 v[44:45], v[59:60], s[2:3], v[44:45]
	v_fma_f64 v[46:47], v[57:58], s[12:13], v[46:47]
	v_add_f64_e64 v[36:37], v[73:74], -v[36:37]
	v_add_f64_e64 v[38:39], v[75:76], -v[38:39]
	v_fma_f64 v[40:41], v[40:41], s[2:3], v[48:49]
	v_fma_f64 v[42:43], v[42:43], s[12:13], v[50:51]
	v_fma_f64 v[48:49], v[61:62], 2.0, -v[32:33]
	v_fma_f64 v[50:51], v[63:64], 2.0, -v[34:35]
	;; [unrolled: 1-line block ×4, first 2 shown]
	v_lshlrev_b16 v65, 3, v56
	s_load_b64 s[2:3], s[0:1], 0x38
	s_delay_alu instid0(VALU_DEP_1) | instskip(NEXT) | instid1(VALU_DEP_1)
	v_and_b32_e32 v65, 0xffff, v65
	v_lshl_add_u32 v154, v65, 4, v164
	v_fma_f64 v[57:58], v[73:74], 2.0, -v[36:37]
	v_fma_f64 v[59:60], v[75:76], 2.0, -v[38:39]
	;; [unrolled: 1-line block ×4, first 2 shown]
	ds_store_b128 v154, v[32:35] offset:96
	ds_store_b128 v154, v[44:47] offset:112
	ds_store_b128 v154, v[48:51] offset:32
	ds_store_b128 v154, v[52:55] offset:48
	ds_store_b128 v154, v[36:39] offset:64
	ds_store_b128 v154, v[40:43] offset:80
	ds_store_b128 v154, v[57:60]
	ds_store_b128 v154, v[61:64] offset:16
	global_wb scope:SCOPE_SE
	s_wait_dscnt 0x0
	s_wait_kmcnt 0x0
	s_barrier_signal -1
	s_barrier_wait -1
	global_inv scope:SCOPE_SE
	ds_load_b128 v[40:43], v255
	ds_load_b128 v[36:39], v255 offset:528
	ds_load_b128 v[80:83], v255 offset:1408
	;; [unrolled: 1-line block ×5, first 2 shown]
	s_and_saveexec_b32 s0, vcc_lo
	s_cbranch_execz .LBB0_3
; %bb.2:
	ds_load_b128 v[32:35], v255 offset:1056
	ds_load_b128 v[44:47], v255 offset:2464
	;; [unrolled: 1-line block ×3, first 2 shown]
.LBB0_3:
	s_wait_alu 0xfffe
	s_or_b32 exec_lo, exec_lo, s0
	v_add_nc_u32_e32 v128, 33, v163
	v_add_co_u32 v130, null, 0x42, v163
	v_and_b32_e32 v129, 7, v163
	s_mov_b32 s0, 0xe8584caa
	s_delay_alu instid0(VALU_DEP_3) | instskip(NEXT) | instid1(VALU_DEP_3)
	v_and_b32_e32 v131, 7, v128
	v_and_b32_e32 v58, 7, v130
	s_mov_b32 s1, 0x3febb67a
	v_lshlrev_b32_e32 v56, 5, v129
	s_mov_b32 s13, 0xbfebb67a
	v_lshlrev_b32_e32 v57, 5, v131
	v_lshlrev_b32_e32 v72, 5, v58
	s_clause 0x1
	global_load_b128 v[68:71], v56, s[10:11]
	global_load_b128 v[64:67], v56, s[10:11] offset:16
	scratch_store_b32 off, v58, off offset:4 ; 4-byte Folded Spill
	s_clause 0x3
	global_load_b128 v[60:63], v57, s[10:11]
	global_load_b128 v[56:59], v57, s[10:11] offset:16
	global_load_b128 v[76:79], v72, s[10:11]
	global_load_b128 v[72:75], v72, s[10:11] offset:16
	s_wait_alu 0xfffe
	s_mov_b32 s12, s0
	s_wait_loadcnt_dscnt 0x503
	v_mul_f64_e32 v[92:93], v[82:83], v[70:71]
	s_wait_loadcnt_dscnt 0x401
	v_mul_f64_e32 v[94:95], v[86:87], v[66:67]
	v_mul_f64_e32 v[96:97], v[80:81], v[70:71]
	;; [unrolled: 1-line block ×3, first 2 shown]
	s_wait_loadcnt 0x3
	v_mul_f64_e32 v[100:101], v[50:51], v[62:63]
	s_wait_loadcnt_dscnt 0x200
	v_mul_f64_e32 v[102:103], v[54:55], v[58:59]
	v_mul_f64_e32 v[104:105], v[48:49], v[62:63]
	;; [unrolled: 1-line block ×3, first 2 shown]
	s_wait_loadcnt 0x1
	v_mul_f64_e32 v[108:109], v[46:47], v[78:79]
	s_wait_loadcnt 0x0
	v_mul_f64_e32 v[110:111], v[90:91], v[74:75]
	v_mul_f64_e32 v[112:113], v[44:45], v[78:79]
	;; [unrolled: 1-line block ×3, first 2 shown]
	v_fma_f64 v[80:81], v[80:81], v[68:69], -v[92:93]
	v_fma_f64 v[84:85], v[84:85], v[64:65], -v[94:95]
	v_fma_f64 v[82:83], v[82:83], v[68:69], v[96:97]
	v_fma_f64 v[86:87], v[86:87], v[64:65], v[98:99]
	v_fma_f64 v[48:49], v[48:49], v[60:61], -v[100:101]
	v_fma_f64 v[52:53], v[52:53], v[56:57], -v[102:103]
	v_fma_f64 v[50:51], v[50:51], v[60:61], v[104:105]
	v_fma_f64 v[54:55], v[54:55], v[56:57], v[106:107]
	;; [unrolled: 4-line block ×3, first 2 shown]
	v_add_f64_e32 v[104:105], v[40:41], v[80:81]
	v_add_f64_e32 v[92:93], v[80:81], v[84:85]
	v_add_f64_e64 v[80:81], v[80:81], -v[84:85]
	v_add_f64_e32 v[94:95], v[82:83], v[86:87]
	v_add_f64_e64 v[106:107], v[82:83], -v[86:87]
	v_add_f64_e32 v[96:97], v[48:49], v[52:53]
	v_add_f64_e32 v[82:83], v[42:43], v[82:83]
	;; [unrolled: 1-line block ×9, first 2 shown]
	v_add_f64_e64 v[50:51], v[50:51], -v[54:55]
	v_add_f64_e64 v[48:49], v[48:49], -v[52:53]
	;; [unrolled: 1-line block ×4, first 2 shown]
	v_add_f64_e32 v[108:109], v[104:105], v[84:85]
	v_fma_f64 v[40:41], v[92:93], -0.5, v[40:41]
	v_fma_f64 v[42:43], v[94:95], -0.5, v[42:43]
	;; [unrolled: 1-line block ×3, first 2 shown]
	v_add_f64_e32 v[110:111], v[82:83], v[86:87]
	v_fma_f64 v[38:39], v[98:99], -0.5, v[38:39]
	v_add_f64_e32 v[44:45], v[112:113], v[52:53]
	v_fma_f64 v[122:123], v[100:101], -0.5, v[32:33]
	;; [unrolled: 2-line block ×3, first 2 shown]
	v_add_f64_e32 v[92:93], v[116:117], v[88:89]
	v_add_f64_e32 v[94:95], v[118:119], v[90:91]
	v_fma_f64 v[32:33], v[106:107], s[0:1], v[40:41]
	s_wait_alu 0xfffe
	v_fma_f64 v[40:41], v[106:107], s[12:13], v[40:41]
	v_fma_f64 v[34:35], v[80:81], s[12:13], v[42:43]
	v_fma_f64 v[42:43], v[80:81], s[0:1], v[42:43]
	v_fma_f64 v[88:89], v[50:51], s[0:1], v[36:37]
	v_fma_f64 v[96:97], v[50:51], s[12:13], v[36:37]
	v_fma_f64 v[90:91], v[48:49], s[12:13], v[38:39]
	v_fma_f64 v[98:99], v[48:49], s[0:1], v[38:39]
	v_fma_f64 v[100:101], v[120:121], s[0:1], v[122:123]
	v_fma_f64 v[104:105], v[120:121], s[12:13], v[122:123]
	v_fma_f64 v[102:103], v[124:125], s[12:13], v[126:127]
	v_fma_f64 v[106:107], v[124:125], s[0:1], v[126:127]
	v_lshrrev_b32_e32 v36, 3, v163
	v_lshrrev_b32_e32 v37, 3, v128
	;; [unrolled: 1-line block ×3, first 2 shown]
	s_delay_alu instid0(VALU_DEP_3) | instskip(NEXT) | instid1(VALU_DEP_3)
	v_mul_u32_u24_e32 v36, 24, v36
	v_mul_u32_u24_e32 v37, 24, v37
	scratch_store_b32 off, v38, off offset:8 ; 4-byte Folded Spill
	global_wb scope:SCOPE_SE
	s_wait_storecnt 0x0
	s_barrier_signal -1
	v_or_b32_e32 v36, v36, v129
	v_or_b32_e32 v37, v37, v131
	s_barrier_wait -1
	global_inv scope:SCOPE_SE
	v_lshl_add_u32 v38, v36, 4, v164
	v_lshl_add_u32 v36, v37, 4, v164
	ds_store_b128 v38, v[108:111]
	ds_store_b128 v38, v[32:35] offset:128
	scratch_store_b32 off, v38, off offset:16 ; 4-byte Folded Spill
	ds_store_b128 v38, v[40:43] offset:256
	ds_store_b128 v36, v[44:47]
	ds_store_b128 v36, v[88:91] offset:128
	scratch_store_b32 off, v36, off offset:12 ; 4-byte Folded Spill
	ds_store_b128 v36, v[96:99] offset:256
	s_and_saveexec_b32 s0, vcc_lo
	s_cbranch_execz .LBB0_5
; %bb.4:
	s_clause 0x1
	scratch_load_b32 v36, off, off offset:8
	scratch_load_b32 v37, off, off offset:4
	s_wait_loadcnt 0x1
	v_mul_u32_u24_e32 v36, 24, v36
	s_wait_loadcnt 0x0
	s_delay_alu instid0(VALU_DEP_1) | instskip(NEXT) | instid1(VALU_DEP_1)
	v_or_b32_e32 v36, v36, v37
	v_lshl_add_u32 v36, v36, 4, v164
	ds_store_b128 v36, v[92:95]
	ds_store_b128 v36, v[100:103] offset:128
	ds_store_b128 v36, v[104:107] offset:256
.LBB0_5:
	s_wait_alu 0xfffe
	s_or_b32 exec_lo, exec_lo, s0
	v_add_co_u32 v112, s0, s8, v153
	s_wait_alu 0xf1ff
	v_add_co_ci_u32_e64 v113, null, s9, 0, s0
	v_cmp_gt_u16_e64 s0, 24, v163
	global_wb scope:SCOPE_SE
	s_wait_storecnt_dscnt 0x0
	s_barrier_signal -1
	s_barrier_wait -1
	global_inv scope:SCOPE_SE
                                        ; implicit-def: $vgpr48_vgpr49
                                        ; implicit-def: $vgpr84_vgpr85
	s_and_saveexec_b32 s1, s0
	s_cbranch_execz .LBB0_7
; %bb.6:
	ds_load_b128 v[108:111], v255
	ds_load_b128 v[32:35], v255 offset:384
	ds_load_b128 v[40:43], v255 offset:768
	;; [unrolled: 1-line block ×10, first 2 shown]
.LBB0_7:
	s_wait_alu 0xfffe
	s_or_b32 exec_lo, exec_lo, s1
	v_subrev_nc_u32_e32 v36, 24, v163
	s_mov_b32 s16, 0xf8bb580b
	s_mov_b32 s17, 0xbfe14ced
	s_mov_b32 s12, 0x8764f0ba
	s_mov_b32 s14, 0x8eee2c13
	v_cndmask_b32_e64 v36, v36, v163, s0
	s_mov_b32 s13, 0x3feaeb8c
	s_mov_b32 s15, 0xbfed1bb4
	;; [unrolled: 1-line block ×4, first 2 shown]
	v_mul_i32_i24_e32 v37, 0xa0, v36
	v_mul_hi_i32_i24_e32 v36, 0xa0, v36
	s_mov_b32 s18, 0x640f44db
	s_mov_b32 s19, 0xbfc2375f
	;; [unrolled: 1-line block ×3, first 2 shown]
	v_add_co_u32 v143, s1, s10, v37
	s_wait_alu 0xf1ff
	v_add_co_ci_u32_e64 v144, s1, s11, v36, s1
	s_mov_b32 s10, 0xd9c712b6
	s_mov_b32 s11, 0x3fda9628
	;; [unrolled: 1-line block ×3, first 2 shown]
	s_clause 0x1
	global_load_b128 v[52:55], v[143:144], off offset:256
	global_load_b128 v[80:83], v[143:144], off offset:272
	s_mov_b32 s22, 0x7f775887
	s_mov_b32 s23, 0xbfe4f49e
	;; [unrolled: 1-line block ×11, first 2 shown]
	s_wait_alu 0xfffe
	s_mov_b32 s30, s16
	s_mov_b32 s39, 0x3fed1bb4
	;; [unrolled: 1-line block ×3, first 2 shown]
	s_wait_loadcnt_dscnt 0x109
	v_mul_f64_e32 v[36:37], v[34:35], v[54:55]
	s_delay_alu instid0(VALU_DEP_1) | instskip(SKIP_1) | instid1(VALU_DEP_1)
	v_fma_f64 v[155:156], v[32:33], v[52:53], -v[36:37]
	v_mul_f64_e32 v[32:33], v[32:33], v[54:55]
	v_fma_f64 v[157:158], v[34:35], v[52:53], v[32:33]
	s_clause 0x1
	global_load_b128 v[32:35], v[143:144], off offset:400
	global_load_b128 v[36:39], v[143:144], off offset:384
	s_wait_loadcnt_dscnt 0x100
	v_mul_f64_e32 v[114:115], v[84:85], v[34:35]
	s_delay_alu instid0(VALU_DEP_1) | instskip(SKIP_1) | instid1(VALU_DEP_2)
	v_fma_f64 v[116:117], v[86:87], v[32:33], v[114:115]
	v_mul_f64_e32 v[86:87], v[86:87], v[34:35]
	v_add_f64_e64 v[221:222], v[157:158], -v[116:117]
	s_delay_alu instid0(VALU_DEP_2) | instskip(SKIP_2) | instid1(VALU_DEP_4)
	v_fma_f64 v[118:119], v[84:85], v[32:33], -v[86:87]
	v_mul_f64_e32 v[84:85], v[42:43], v[82:83]
	v_add_f64_e32 v[243:244], v[157:158], v[116:117]
	v_mul_f64_e32 v[207:208], s[16:17], v[221:222]
	s_delay_alu instid0(VALU_DEP_4) | instskip(NEXT) | instid1(VALU_DEP_4)
	v_add_f64_e32 v[215:216], v[155:156], v[118:119]
	v_fma_f64 v[124:125], v[40:41], v[80:81], -v[84:85]
	v_mul_f64_e32 v[40:41], v[40:41], v[82:83]
	v_add_f64_e64 v[245:246], v[155:156], -v[118:119]
	v_mul_f64_e32 v[247:248], s[14:15], v[221:222]
	v_mul_f64_e32 v[251:252], s[20:21], v[221:222]
	s_delay_alu instid0(VALU_DEP_4)
	v_fma_f64 v[126:127], v[42:43], v[80:81], v[40:41]
	s_wait_loadcnt 0x0
	v_mul_f64_e32 v[40:41], v[48:49], v[38:39]
	v_mul_f64_e32 v[241:242], s[16:17], v[245:246]
	;; [unrolled: 1-line block ×4, first 2 shown]
	s_delay_alu instid0(VALU_DEP_4) | instskip(SKIP_1) | instid1(VALU_DEP_2)
	v_fma_f64 v[120:121], v[50:51], v[36:37], v[40:41]
	v_mul_f64_e32 v[40:41], v[50:51], v[38:39]
	v_add_f64_e64 v[159:160], v[126:127], -v[120:121]
	s_delay_alu instid0(VALU_DEP_2)
	v_fma_f64 v[185:186], v[48:49], v[36:37], -v[40:41]
	s_clause 0x1
	global_load_b128 v[40:43], v[143:144], off offset:288
	global_load_b128 v[84:87], v[143:144], off offset:304
	v_add_f64_e32 v[161:162], v[126:127], v[120:121]
	v_mul_f64_e32 v[173:174], s[14:15], v[159:160]
	v_add_f64_e32 v[151:152], v[124:125], v[185:186]
	v_add_f64_e64 v[169:170], v[124:125], -v[185:186]
	v_mul_f64_e32 v[203:204], s[34:35], v[159:160]
	v_mul_f64_e32 v[217:218], s[26:27], v[159:160]
	s_delay_alu instid0(VALU_DEP_3) | instskip(SKIP_2) | instid1(VALU_DEP_1)
	v_mul_f64_e32 v[177:178], s[14:15], v[169:170]
	v_mul_f64_e32 v[209:210], s[34:35], v[169:170]
	;; [unrolled: 1-line block ×3, first 2 shown]
	v_fma_f64 v[229:230], v[161:162], s[24:25], -v[227:228]
	s_wait_loadcnt 0x1
	v_mul_f64_e32 v[48:49], v[46:47], v[42:43]
	s_delay_alu instid0(VALU_DEP_1) | instskip(SKIP_1) | instid1(VALU_DEP_1)
	v_fma_f64 v[128:129], v[44:45], v[40:41], -v[48:49]
	v_mul_f64_e32 v[44:45], v[44:45], v[42:43]
	v_fma_f64 v[189:190], v[46:47], v[40:41], v[44:45]
	s_clause 0x1
	global_load_b128 v[44:47], v[143:144], off offset:368
	global_load_b128 v[48:51], v[143:144], off offset:352
	s_wait_loadcnt 0x1
	v_mul_f64_e32 v[130:131], v[104:105], v[46:47]
	s_delay_alu instid0(VALU_DEP_1) | instskip(SKIP_1) | instid1(VALU_DEP_2)
	v_fma_f64 v[195:196], v[106:107], v[44:45], v[130:131]
	v_mul_f64_e32 v[106:107], v[106:107], v[46:47]
	v_add_f64_e64 v[179:180], v[189:190], -v[195:196]
	s_delay_alu instid0(VALU_DEP_2)
	v_fma_f64 v[132:133], v[104:105], v[44:45], -v[106:107]
	v_mul_f64_e32 v[104:105], v[90:91], v[86:87]
	v_add_f64_e32 v[171:172], v[189:190], v[195:196]
	v_fma_f64 v[106:107], v[151:152], s[24:25], v[217:218]
	v_mul_f64_e32 v[2:3], s[20:21], v[179:180]
	v_add_f64_e32 v[165:166], v[128:129], v[132:133]
	v_fma_f64 v[136:137], v[88:89], v[84:85], -v[104:105]
	v_mul_f64_e32 v[88:89], v[88:89], v[86:87]
	v_add_f64_e64 v[181:182], v[128:129], -v[132:133]
	v_mul_f64_e32 v[205:206], s[26:27], v[179:180]
	s_delay_alu instid0(VALU_DEP_3) | instskip(SKIP_2) | instid1(VALU_DEP_4)
	v_fma_f64 v[141:142], v[90:91], v[84:85], v[88:89]
	s_wait_loadcnt 0x0
	v_mul_f64_e32 v[88:89], v[102:103], v[50:51]
	v_mul_f64_e32 v[0:1], s[20:21], v[181:182]
	;; [unrolled: 1-line block ×4, first 2 shown]
	s_delay_alu instid0(VALU_DEP_4) | instskip(SKIP_1) | instid1(VALU_DEP_2)
	v_fma_f64 v[134:135], v[100:101], v[48:49], -v[88:89]
	v_mul_f64_e32 v[88:89], v[100:101], v[50:51]
	v_add_f64_e32 v[175:176], v[136:137], v[134:135]
	s_delay_alu instid0(VALU_DEP_2)
	v_fma_f64 v[138:139], v[102:103], v[48:49], v[88:89]
	s_clause 0x1
	global_load_b128 v[88:91], v[143:144], off offset:320
	global_load_b128 v[100:103], v[143:144], off offset:336
	v_add_f64_e64 v[197:198], v[136:137], -v[134:135]
	v_add_f64_e64 v[191:192], v[141:142], -v[138:139]
	v_add_f64_e32 v[187:188], v[141:142], v[138:139]
	s_delay_alu instid0(VALU_DEP_3)
	v_mul_f64_e32 v[10:11], s[34:35], v[197:198]
	v_mul_f64_e32 v[223:224], s[36:37], v[197:198]
	v_mul_f64_e32 v[237:238], s[16:17], v[197:198]
	v_mul_f64_e32 v[6:7], s[34:35], v[191:192]
	v_mul_f64_e32 v[211:212], s[36:37], v[191:192]
	v_mul_f64_e32 v[233:234], s[16:17], v[191:192]
	s_wait_loadcnt 0x1
	v_mul_f64_e32 v[104:105], v[98:99], v[90:91]
	s_delay_alu instid0(VALU_DEP_1) | instskip(SKIP_2) | instid1(VALU_DEP_2)
	v_fma_f64 v[143:144], v[96:97], v[88:89], -v[104:105]
	v_mul_f64_e32 v[96:97], v[96:97], v[90:91]
	v_fma_f64 v[104:105], v[161:162], s[22:23], -v[209:210]
	v_fma_f64 v[147:148], v[98:99], v[88:89], v[96:97]
	s_wait_loadcnt 0x0
	v_mul_f64_e32 v[96:97], v[94:95], v[102:103]
	v_fma_f64 v[98:99], v[151:152], s[22:23], v[203:204]
	s_delay_alu instid0(VALU_DEP_2) | instskip(SKIP_2) | instid1(VALU_DEP_3)
	v_fma_f64 v[145:146], v[92:93], v[100:101], -v[96:97]
	v_mul_f64_e32 v[92:93], v[92:93], v[102:103]
	v_fma_f64 v[96:97], v[161:162], s[10:11], -v[177:178]
	v_add_f64_e32 v[183:184], v[143:144], v[145:146]
	s_delay_alu instid0(VALU_DEP_3) | instskip(SKIP_3) | instid1(VALU_DEP_4)
	v_fma_f64 v[149:150], v[94:95], v[100:101], v[92:93]
	v_fma_f64 v[92:93], v[215:216], s[12:13], v[207:208]
	;; [unrolled: 1-line block ×3, first 2 shown]
	v_add_f64_e64 v[201:202], v[143:144], -v[145:146]
	v_add_f64_e64 v[199:200], v[147:148], -v[149:150]
	s_delay_alu instid0(VALU_DEP_4) | instskip(SKIP_1) | instid1(VALU_DEP_4)
	v_add_f64_e32 v[92:93], v[108:109], v[92:93]
	v_add_f64_e32 v[193:194], v[147:148], v[149:150]
	v_mul_f64_e32 v[8:9], s[28:29], v[201:202]
	v_mul_f64_e32 v[225:226], s[30:31], v[201:202]
	;; [unrolled: 1-line block ×3, first 2 shown]
	v_add_f64_e32 v[92:93], v[94:95], v[92:93]
	v_fma_f64 v[94:95], v[243:244], s[12:13], -v[241:242]
	v_mul_f64_e32 v[213:214], s[30:31], v[199:200]
	s_delay_alu instid0(VALU_DEP_2) | instskip(NEXT) | instid1(VALU_DEP_1)
	v_add_f64_e32 v[94:95], v[110:111], v[94:95]
	v_add_f64_e32 v[94:95], v[96:97], v[94:95]
	v_fma_f64 v[96:97], v[165:166], s[18:19], v[2:3]
	s_delay_alu instid0(VALU_DEP_1) | instskip(SKIP_1) | instid1(VALU_DEP_1)
	v_add_f64_e32 v[92:93], v[96:97], v[92:93]
	v_fma_f64 v[96:97], v[171:172], s[18:19], -v[0:1]
	v_add_f64_e32 v[94:95], v[96:97], v[94:95]
	v_fma_f64 v[96:97], v[175:176], s[22:23], v[6:7]
	s_delay_alu instid0(VALU_DEP_1) | instskip(SKIP_1) | instid1(VALU_DEP_1)
	v_add_f64_e32 v[92:93], v[96:97], v[92:93]
	v_fma_f64 v[96:97], v[187:188], s[22:23], -v[10:11]
	;; [unrolled: 5-line block ×3, first 2 shown]
	v_add_f64_e32 v[94:95], v[96:97], v[94:95]
	v_fma_f64 v[96:97], v[215:216], s[10:11], v[247:248]
	s_delay_alu instid0(VALU_DEP_1) | instskip(NEXT) | instid1(VALU_DEP_1)
	v_add_f64_e32 v[96:97], v[108:109], v[96:97]
	v_add_f64_e32 v[96:97], v[98:99], v[96:97]
	v_fma_f64 v[98:99], v[243:244], s[10:11], -v[249:250]
	s_delay_alu instid0(VALU_DEP_1) | instskip(NEXT) | instid1(VALU_DEP_1)
	v_add_f64_e32 v[98:99], v[110:111], v[98:99]
	v_add_f64_e32 v[98:99], v[104:105], v[98:99]
	v_fma_f64 v[104:105], v[165:166], s[24:25], v[205:206]
	s_delay_alu instid0(VALU_DEP_1) | instskip(SKIP_1) | instid1(VALU_DEP_1)
	v_add_f64_e32 v[96:97], v[104:105], v[96:97]
	v_fma_f64 v[104:105], v[171:172], s[24:25], -v[219:220]
	v_add_f64_e32 v[98:99], v[104:105], v[98:99]
	v_fma_f64 v[104:105], v[175:176], s[18:19], v[211:212]
	s_delay_alu instid0(VALU_DEP_1) | instskip(SKIP_1) | instid1(VALU_DEP_1)
	v_add_f64_e32 v[96:97], v[104:105], v[96:97]
	v_fma_f64 v[104:105], v[187:188], s[18:19], -v[223:224]
	v_add_f64_e32 v[98:99], v[104:105], v[98:99]
	v_fma_f64 v[104:105], v[183:184], s[12:13], v[213:214]
	s_delay_alu instid0(VALU_DEP_1) | instskip(SKIP_1) | instid1(VALU_DEP_1)
	v_add_f64_e32 v[96:97], v[104:105], v[96:97]
	v_fma_f64 v[104:105], v[193:194], s[12:13], -v[225:226]
	v_add_f64_e32 v[98:99], v[104:105], v[98:99]
	v_fma_f64 v[104:105], v[215:216], s[18:19], v[251:252]
	s_delay_alu instid0(VALU_DEP_1) | instskip(NEXT) | instid1(VALU_DEP_1)
	v_add_f64_e32 v[104:105], v[108:109], v[104:105]
	v_add_f64_e32 v[104:105], v[106:107], v[104:105]
	v_fma_f64 v[106:107], v[243:244], s[18:19], -v[253:254]
	s_delay_alu instid0(VALU_DEP_1) | instskip(NEXT) | instid1(VALU_DEP_1)
	v_add_f64_e32 v[106:107], v[110:111], v[106:107]
	v_add_f64_e32 v[106:107], v[229:230], v[106:107]
	v_mul_f64_e32 v[229:230], s[38:39], v[179:180]
	s_delay_alu instid0(VALU_DEP_1) | instskip(NEXT) | instid1(VALU_DEP_1)
	v_fma_f64 v[231:232], v[165:166], s[10:11], v[229:230]
	v_add_f64_e32 v[104:105], v[231:232], v[104:105]
	v_fma_f64 v[231:232], v[171:172], s[10:11], -v[235:236]
	s_delay_alu instid0(VALU_DEP_1) | instskip(SKIP_1) | instid1(VALU_DEP_1)
	v_add_f64_e32 v[106:107], v[231:232], v[106:107]
	v_fma_f64 v[231:232], v[175:176], s[12:13], v[233:234]
	v_add_f64_e32 v[104:105], v[231:232], v[104:105]
	v_fma_f64 v[231:232], v[187:188], s[12:13], -v[237:238]
	s_delay_alu instid0(VALU_DEP_1) | instskip(SKIP_1) | instid1(VALU_DEP_1)
	v_add_f64_e32 v[106:107], v[231:232], v[106:107]
	v_mul_f64_e32 v[231:232], s[34:35], v[199:200]
	v_fma_f64 v[239:240], v[183:184], s[22:23], v[231:232]
	s_delay_alu instid0(VALU_DEP_1) | instskip(SKIP_1) | instid1(VALU_DEP_1)
	v_add_f64_e32 v[104:105], v[239:240], v[104:105]
	v_mul_f64_e32 v[239:240], s[34:35], v[201:202]
	v_fma_f64 v[114:115], v[193:194], s[22:23], -v[239:240]
	s_delay_alu instid0(VALU_DEP_1)
	v_add_f64_e32 v[106:107], v[114:115], v[106:107]
	s_mov_b32 s1, exec_lo
	s_wait_alu 0xfffe
	s_and_b32 s33, s1, s0
	scratch_store_b32 off, v164, off        ; 4-byte Folded Spill
	s_mov_b32 exec_lo, s33
	s_cbranch_execz .LBB0_9
; %bb.8:
	v_mul_f64_e32 v[114:115], s[24:25], v[243:244]
	scratch_store_b64 off, v[118:119], off offset:88 ; 8-byte Folded Spill
	v_mul_f64_e32 v[118:119], s[22:23], v[243:244]
	s_mov_b32 s41, 0x3fe82f19
	s_mov_b32 s40, s34
	v_dual_mov_b32 v14, v116 :: v_dual_mov_b32 v15, v117
	v_add_f64_e32 v[12:13], v[110:111], v[157:158]
	s_clause 0x1
	scratch_store_b64 off, v[120:121], off offset:96
	scratch_store_b32 off, v163, off offset:84
	v_dual_mov_b32 v131, v125 :: v_dual_mov_b32 v130, v124
	v_mul_f64_e32 v[124:125], s[18:19], v[193:194]
	v_fma_f64 v[116:117], v[245:246], s[26:27], v[114:115]
	v_fma_f64 v[114:115], v[245:246], s[28:29], v[114:115]
	;; [unrolled: 1-line block ×4, first 2 shown]
	v_mul_f64_e32 v[245:246], s[18:19], v[243:244]
	scratch_store_b64 off, v[12:13], off offset:104 ; 8-byte Folded Spill
	v_add_f64_e32 v[12:13], v[108:109], v[155:156]
	v_add_f64_e32 v[116:117], v[110:111], v[116:117]
	;; [unrolled: 1-line block ×6, first 2 shown]
	v_mul_f64_e32 v[253:254], s[10:11], v[243:244]
	v_mul_f64_e32 v[243:244], s[12:13], v[243:244]
	scratch_store_b64 off, v[12:13], off offset:112 ; 8-byte Folded Spill
	v_dual_mov_b32 v12, v132 :: v_dual_mov_b32 v13, v133
	v_dual_mov_b32 v133, v127 :: v_dual_mov_b32 v132, v126
	v_mul_f64_e32 v[126:127], s[20:21], v[199:200]
	v_add_f64_e32 v[249:250], v[249:250], v[253:254]
	v_mul_f64_e32 v[253:254], s[10:11], v[215:216]
	v_add_f64_e32 v[241:242], v[241:242], v[243:244]
	v_mul_f64_e32 v[243:244], s[28:29], v[221:222]
	v_mul_f64_e32 v[221:222], s[34:35], v[221:222]
	s_delay_alu instid0(VALU_DEP_4) | instskip(SKIP_2) | instid1(VALU_DEP_4)
	v_add_f64_e64 v[247:248], v[253:254], -v[247:248]
	v_mul_f64_e32 v[253:254], s[18:19], v[215:216]
	v_add_f64_e32 v[241:242], v[110:111], v[241:242]
	v_fma_f64 v[163:164], v[215:216], s[22:23], -v[221:222]
	v_fma_f64 v[221:222], v[215:216], s[22:23], v[221:222]
	v_add_f64_e32 v[247:248], v[108:109], v[247:248]
	v_add_f64_e64 v[251:252], v[253:254], -v[251:252]
	v_fma_f64 v[253:254], v[215:216], s[24:25], v[243:244]
	v_fma_f64 v[243:244], v[215:216], s[24:25], -v[243:244]
	v_mul_f64_e32 v[215:216], s[12:13], v[215:216]
	v_add_f64_e32 v[163:164], v[108:109], v[163:164]
	v_add_f64_e32 v[221:222], v[108:109], v[221:222]
	;; [unrolled: 1-line block ×4, first 2 shown]
	v_add_f64_e64 v[207:208], v[215:216], -v[207:208]
	v_add_f64_e32 v[243:244], v[110:111], v[245:246]
	v_add_f64_e32 v[245:246], v[110:111], v[249:250]
	;; [unrolled: 1-line block ×3, first 2 shown]
	s_delay_alu instid0(VALU_DEP_4) | instskip(SKIP_1) | instid1(VALU_DEP_1)
	v_add_f64_e32 v[251:252], v[108:109], v[207:208]
	v_mul_f64_e32 v[207:208], s[12:13], v[161:162]
	v_fma_f64 v[108:109], v[169:170], s[16:17], v[207:208]
	s_delay_alu instid0(VALU_DEP_1) | instskip(SKIP_1) | instid1(VALU_DEP_1)
	v_add_f64_e32 v[108:109], v[108:109], v[116:117]
	v_mul_f64_e32 v[116:117], s[30:31], v[159:160]
	v_fma_f64 v[110:111], v[151:152], s[12:13], v[116:117]
	v_fma_f64 v[116:117], v[151:152], s[12:13], -v[116:117]
	s_delay_alu instid0(VALU_DEP_2) | instskip(SKIP_1) | instid1(VALU_DEP_3)
	v_add_f64_e32 v[110:111], v[110:111], v[155:156]
	v_mul_f64_e32 v[155:156], s[22:23], v[171:172]
	v_add_f64_e32 v[116:117], v[116:117], v[157:158]
	s_delay_alu instid0(VALU_DEP_2) | instskip(SKIP_1) | instid1(VALU_DEP_2)
	v_fma_f64 v[253:254], v[181:182], s[40:41], v[155:156]
	v_fma_f64 v[155:156], v[181:182], s[34:35], v[155:156]
	v_add_f64_e32 v[108:109], v[253:254], v[108:109]
	v_mul_f64_e32 v[253:254], s[34:35], v[179:180]
	s_delay_alu instid0(VALU_DEP_1) | instskip(NEXT) | instid1(VALU_DEP_1)
	v_fma_f64 v[215:216], v[165:166], s[22:23], v[253:254]
	v_add_f64_e32 v[110:111], v[215:216], v[110:111]
	v_mul_f64_e32 v[215:216], s[10:11], v[187:188]
	s_delay_alu instid0(VALU_DEP_1) | instskip(NEXT) | instid1(VALU_DEP_1)
	v_fma_f64 v[122:123], v[197:198], s[14:15], v[215:216]
	v_add_f64_e32 v[108:109], v[122:123], v[108:109]
	v_mul_f64_e32 v[122:123], s[38:39], v[191:192]
	s_delay_alu instid0(VALU_DEP_1) | instskip(SKIP_1) | instid1(VALU_DEP_2)
	v_fma_f64 v[167:168], v[175:176], s[10:11], v[122:123]
	v_fma_f64 v[122:123], v[175:176], s[10:11], -v[122:123]
	v_add_f64_e32 v[167:168], v[167:168], v[110:111]
	v_fma_f64 v[110:111], v[201:202], s[36:37], v[124:125]
	s_delay_alu instid0(VALU_DEP_1) | instskip(SKIP_1) | instid1(VALU_DEP_1)
	v_add_f64_e32 v[110:111], v[110:111], v[108:109]
	v_fma_f64 v[108:109], v[183:184], s[18:19], v[126:127]
	v_add_f64_e32 v[108:109], v[108:109], v[167:168]
	v_fma_f64 v[167:168], v[169:170], s[30:31], v[207:208]
	v_mul_f64_e32 v[207:208], s[22:23], v[193:194]
	s_delay_alu instid0(VALU_DEP_2) | instskip(SKIP_1) | instid1(VALU_DEP_3)
	v_add_f64_e32 v[114:115], v[167:168], v[114:115]
	v_mul_f64_e32 v[167:168], s[18:19], v[175:176]
	v_add_f64_e32 v[207:208], v[239:240], v[207:208]
	s_delay_alu instid0(VALU_DEP_3) | instskip(SKIP_1) | instid1(VALU_DEP_4)
	v_add_f64_e32 v[114:115], v[155:156], v[114:115]
	v_fma_f64 v[155:156], v[165:166], s[22:23], -v[253:254]
	v_add_f64_e64 v[167:168], v[167:168], -v[211:212]
	s_delay_alu instid0(VALU_DEP_2) | instskip(SKIP_1) | instid1(VALU_DEP_2)
	v_add_f64_e32 v[116:117], v[155:156], v[116:117]
	v_fma_f64 v[155:156], v[197:198], s[38:39], v[215:216]
	v_add_f64_e32 v[116:117], v[122:123], v[116:117]
	s_delay_alu instid0(VALU_DEP_2) | instskip(SKIP_3) | instid1(VALU_DEP_3)
	v_add_f64_e32 v[114:115], v[155:156], v[114:115]
	v_fma_f64 v[122:123], v[201:202], s[20:21], v[124:125]
	v_fma_f64 v[124:125], v[183:184], s[18:19], -v[126:127]
	v_mul_f64_e32 v[126:127], s[18:19], v[187:188]
	v_add_f64_e32 v[157:158], v[122:123], v[114:115]
	v_mul_f64_e32 v[114:115], s[22:23], v[161:162]
	s_delay_alu instid0(VALU_DEP_4)
	v_add_f64_e32 v[155:156], v[124:125], v[116:117]
	v_mul_f64_e32 v[116:117], s[22:23], v[151:152]
	v_mul_f64_e32 v[122:123], s[24:25], v[171:172]
	;; [unrolled: 1-line block ×3, first 2 shown]
	v_add_f64_e32 v[126:127], v[223:224], v[126:127]
	v_add_f64_e32 v[114:115], v[209:210], v[114:115]
	v_add_f64_e64 v[116:117], v[116:117], -v[203:204]
	v_add_f64_e32 v[122:123], v[219:220], v[122:123]
	v_add_f64_e64 v[124:125], v[124:125], -v[205:206]
	v_mul_f64_e32 v[203:204], s[12:13], v[193:194]
	v_add_f64_e32 v[114:115], v[114:115], v[245:246]
	v_add_f64_e32 v[116:117], v[116:117], v[247:248]
	s_delay_alu instid0(VALU_DEP_3) | instskip(NEXT) | instid1(VALU_DEP_3)
	v_add_f64_e32 v[203:204], v[225:226], v[203:204]
	v_add_f64_e32 v[114:115], v[122:123], v[114:115]
	v_mul_f64_e32 v[122:123], s[12:13], v[183:184]
	s_delay_alu instid0(VALU_DEP_4) | instskip(SKIP_1) | instid1(VALU_DEP_4)
	v_add_f64_e32 v[116:117], v[124:125], v[116:117]
	v_mul_f64_e32 v[124:125], s[10:11], v[165:166]
	v_add_f64_e32 v[114:115], v[126:127], v[114:115]
	s_delay_alu instid0(VALU_DEP_4) | instskip(NEXT) | instid1(VALU_DEP_4)
	v_add_f64_e64 v[122:123], v[122:123], -v[213:214]
	v_add_f64_e32 v[116:117], v[167:168], v[116:117]
	v_mul_f64_e32 v[126:127], s[12:13], v[187:188]
	v_add_f64_e64 v[124:125], v[124:125], -v[229:230]
	v_mul_f64_e32 v[167:168], s[12:13], v[175:176]
	v_add_f64_e32 v[205:206], v[203:204], v[114:115]
	v_mul_f64_e32 v[114:115], s[24:25], v[161:162]
	v_add_f64_e32 v[203:204], v[122:123], v[116:117]
	v_mul_f64_e32 v[116:117], s[24:25], v[151:152]
	v_mul_f64_e32 v[122:123], s[10:11], v[171:172]
	v_add_f64_e32 v[126:127], v[237:238], v[126:127]
	v_add_f64_e64 v[167:168], v[167:168], -v[233:234]
	v_add_f64_e32 v[114:115], v[227:228], v[114:115]
	v_add_f64_e64 v[116:117], v[116:117], -v[217:218]
	v_add_f64_e32 v[122:123], v[235:236], v[122:123]
	s_delay_alu instid0(VALU_DEP_3) | instskip(NEXT) | instid1(VALU_DEP_3)
	v_add_f64_e32 v[114:115], v[114:115], v[243:244]
	v_add_f64_e32 v[116:117], v[116:117], v[249:250]
	s_delay_alu instid0(VALU_DEP_2) | instskip(SKIP_1) | instid1(VALU_DEP_3)
	v_add_f64_e32 v[114:115], v[122:123], v[114:115]
	v_mul_f64_e32 v[122:123], s[22:23], v[183:184]
	v_add_f64_e32 v[116:117], v[124:125], v[116:117]
	v_mul_f64_e32 v[124:125], s[12:13], v[171:172]
	s_delay_alu instid0(VALU_DEP_4) | instskip(NEXT) | instid1(VALU_DEP_4)
	v_add_f64_e32 v[114:115], v[126:127], v[114:115]
	v_add_f64_e64 v[122:123], v[122:123], -v[231:232]
	s_delay_alu instid0(VALU_DEP_4) | instskip(NEXT) | instid1(VALU_DEP_4)
	v_add_f64_e32 v[116:117], v[167:168], v[116:117]
	v_fma_f64 v[126:127], v[181:182], s[16:17], v[124:125]
	s_delay_alu instid0(VALU_DEP_4) | instskip(SKIP_1) | instid1(VALU_DEP_4)
	v_add_f64_e32 v[209:210], v[207:208], v[114:115]
	v_mul_f64_e32 v[114:115], s[18:19], v[161:162]
	v_add_f64_e32 v[207:208], v[122:123], v[116:117]
	s_delay_alu instid0(VALU_DEP_2) | instskip(SKIP_1) | instid1(VALU_DEP_2)
	v_fma_f64 v[116:117], v[169:170], s[36:37], v[114:115]
	v_fma_f64 v[114:115], v[169:170], s[20:21], v[114:115]
	v_add_f64_e32 v[116:117], v[116:117], v[118:119]
	v_mul_f64_e32 v[118:119], s[36:37], v[159:160]
	s_delay_alu instid0(VALU_DEP_3) | instskip(SKIP_1) | instid1(VALU_DEP_4)
	v_add_f64_e32 v[114:115], v[114:115], v[120:121]
	v_mul_f64_e32 v[120:121], s[18:19], v[165:166]
	v_add_f64_e32 v[116:117], v[126:127], v[116:117]
	s_delay_alu instid0(VALU_DEP_4)
	v_fma_f64 v[122:123], v[151:152], s[18:19], -v[118:119]
	v_mul_f64_e32 v[126:127], s[16:17], v[179:180]
	v_mul_f64_e32 v[179:180], s[10:11], v[193:194]
	v_fma_f64 v[118:119], v[151:152], s[18:19], v[118:119]
	v_add_f64_e64 v[120:121], v[120:121], -v[2:3]
	v_add_f64_e32 v[122:123], v[122:123], v[163:164]
	v_fma_f64 v[159:160], v[165:166], s[12:13], -v[126:127]
	s_delay_alu instid0(VALU_DEP_4) | instskip(NEXT) | instid1(VALU_DEP_2)
	v_add_f64_e32 v[118:119], v[118:119], v[221:222]
	v_add_f64_e32 v[122:123], v[159:160], v[122:123]
	v_mul_f64_e32 v[159:160], s[24:25], v[187:188]
	s_delay_alu instid0(VALU_DEP_1) | instskip(NEXT) | instid1(VALU_DEP_1)
	v_fma_f64 v[163:164], v[197:198], s[28:29], v[159:160]
	v_add_f64_e32 v[116:117], v[163:164], v[116:117]
	v_mul_f64_e32 v[163:164], s[28:29], v[191:192]
	v_fma_f64 v[191:192], v[201:202], s[38:39], v[179:180]
	s_delay_alu instid0(VALU_DEP_2) | instskip(NEXT) | instid1(VALU_DEP_2)
	v_fma_f64 v[167:168], v[175:176], s[24:25], -v[163:164]
	v_add_f64_e32 v[213:214], v[191:192], v[116:117]
	s_delay_alu instid0(VALU_DEP_2) | instskip(SKIP_1) | instid1(VALU_DEP_1)
	v_add_f64_e32 v[122:123], v[167:168], v[122:123]
	v_mul_f64_e32 v[167:168], s[38:39], v[199:200]
	v_fma_f64 v[116:117], v[183:184], s[10:11], -v[167:168]
	s_delay_alu instid0(VALU_DEP_1) | instskip(SKIP_3) | instid1(VALU_DEP_3)
	v_add_f64_e32 v[211:212], v[116:117], v[122:123]
	v_fma_f64 v[116:117], v[181:182], s[30:31], v[124:125]
	v_fma_f64 v[124:125], v[201:202], s[14:15], v[179:180]
	;; [unrolled: 1-line block ×3, first 2 shown]
	v_add_f64_e32 v[114:115], v[116:117], v[114:115]
	v_fma_f64 v[116:117], v[165:166], s[12:13], v[126:127]
	v_mul_f64_e32 v[126:127], s[24:25], v[193:194]
	s_delay_alu instid0(VALU_DEP_3) | instskip(NEXT) | instid1(VALU_DEP_3)
	v_add_f64_e32 v[114:115], v[122:123], v[114:115]
	v_add_f64_e32 v[116:117], v[116:117], v[118:119]
	v_fma_f64 v[118:119], v[175:176], s[24:25], v[163:164]
	s_clause 0x1
	scratch_load_b32 v163, off, off offset:84
	scratch_load_b32 v164, off, off
	v_mul_f64_e32 v[122:123], s[22:23], v[187:188]
	v_add_f64_e32 v[126:127], v[8:9], v[126:127]
	v_add_f64_e32 v[181:182], v[124:125], v[114:115]
	v_mul_f64_e32 v[114:115], s[10:11], v[161:162]
	v_add_f64_e32 v[116:117], v[118:119], v[116:117]
	v_fma_f64 v[118:119], v[183:184], s[10:11], v[167:168]
	v_add_f64_e32 v[122:123], v[10:11], v[122:123]
	v_mul_f64_e32 v[124:125], s[22:23], v[175:176]
	v_add_f64_e32 v[114:115], v[177:178], v[114:115]
	s_delay_alu instid0(VALU_DEP_4) | instskip(SKIP_4) | instid1(VALU_DEP_4)
	v_add_f64_e32 v[179:180], v[118:119], v[116:117]
	v_mul_f64_e32 v[118:119], s[18:19], v[171:172]
	v_mul_f64_e32 v[116:117], s[10:11], v[151:152]
	v_add_f64_e64 v[124:125], v[124:125], -v[6:7]
	v_add_f64_e32 v[114:115], v[114:115], v[241:242]
	v_add_f64_e32 v[118:119], v[0:1], v[118:119]
	scratch_load_b64 v[0:1], off, off offset:104 th:TH_LOAD_LU ; 8-byte Folded Reload
	v_add_f64_e64 v[116:117], v[116:117], -v[173:174]
	v_add_f64_e32 v[114:115], v[118:119], v[114:115]
	v_mul_f64_e32 v[118:119], s[24:25], v[183:184]
	s_delay_alu instid0(VALU_DEP_3) | instskip(NEXT) | instid1(VALU_DEP_3)
	v_add_f64_e32 v[116:117], v[116:117], v[251:252]
	v_add_f64_e32 v[114:115], v[122:123], v[114:115]
	s_delay_alu instid0(VALU_DEP_3) | instskip(NEXT) | instid1(VALU_DEP_3)
	v_add_f64_e64 v[118:119], v[118:119], -v[4:5]
	v_add_f64_e32 v[116:117], v[120:121], v[116:117]
	s_delay_alu instid0(VALU_DEP_3) | instskip(NEXT) | instid1(VALU_DEP_2)
	v_add_f64_e32 v[161:162], v[126:127], v[114:115]
	v_add_f64_e32 v[116:117], v[124:125], v[116:117]
	s_delay_alu instid0(VALU_DEP_1) | instskip(SKIP_4) | instid1(VALU_DEP_1)
	v_add_f64_e32 v[159:160], v[118:119], v[116:117]
	s_wait_loadcnt 0x0
	v_add_f64_e32 v[114:115], v[0:1], v[132:133]
	scratch_load_b64 v[0:1], off, off offset:112 th:TH_LOAD_LU ; 8-byte Folded Reload
	v_add_f64_e32 v[114:115], v[114:115], v[189:190]
	v_add_f64_e32 v[114:115], v[114:115], v[141:142]
	s_delay_alu instid0(VALU_DEP_1) | instskip(NEXT) | instid1(VALU_DEP_1)
	v_add_f64_e32 v[114:115], v[114:115], v[147:148]
	v_add_f64_e32 v[114:115], v[114:115], v[149:150]
	s_delay_alu instid0(VALU_DEP_1) | instskip(NEXT) | instid1(VALU_DEP_1)
	v_add_f64_e32 v[114:115], v[114:115], v[138:139]
	v_add_f64_e32 v[114:115], v[114:115], v[195:196]
	s_wait_loadcnt 0x0
	v_add_f64_e32 v[116:117], v[0:1], v[130:131]
	scratch_load_b64 v[0:1], off, off offset:96 th:TH_LOAD_LU ; 8-byte Folded Reload
	v_add_f64_e32 v[116:117], v[116:117], v[128:129]
	s_delay_alu instid0(VALU_DEP_1) | instskip(NEXT) | instid1(VALU_DEP_1)
	v_add_f64_e32 v[116:117], v[116:117], v[136:137]
	v_add_f64_e32 v[116:117], v[116:117], v[143:144]
	s_delay_alu instid0(VALU_DEP_1) | instskip(NEXT) | instid1(VALU_DEP_1)
	v_add_f64_e32 v[116:117], v[116:117], v[145:146]
	;; [unrolled: 3-line block ×3, first 2 shown]
	v_add_f64_e32 v[116:117], v[116:117], v[185:186]
	s_wait_loadcnt 0x0
	v_add_f64_e32 v[114:115], v[114:115], v[0:1]
	scratch_load_b64 v[0:1], off, off offset:88 th:TH_LOAD_LU ; 8-byte Folded Reload
	v_add_f64_e32 v[118:119], v[114:115], v[14:15]
	v_lshl_add_u32 v114, v163, 4, v164
	s_wait_loadcnt 0x0
	v_add_f64_e32 v[116:117], v[116:117], v[0:1]
	ds_store_b128 v114, v[203:206] offset:768
	ds_store_b128 v114, v[104:107] offset:3072
	ds_store_b128 v114, v[96:99] offset:3456
	ds_store_b128 v114, v[207:210] offset:1152
	ds_store_b128 v114, v[211:214] offset:1536
	ds_store_b128 v114, v[155:158] offset:1920
	ds_store_b128 v114, v[108:111] offset:2304
	ds_store_b128 v114, v[179:182] offset:2688
	ds_store_b128 v114, v[159:162] offset:384
	ds_store_b128 v255, v[116:119]
	ds_store_b128 v114, v[92:95] offset:3840
.LBB0_9:
	s_or_b32 exec_lo, exec_lo, s1
	s_add_nc_u64 s[8:9], s[8:9], 0x1080
	global_wb scope:SCOPE_SE
	s_wait_storecnt_dscnt 0x0
	s_barrier_signal -1
	s_barrier_wait -1
	global_inv scope:SCOPE_SE
	s_clause 0x7
	global_load_b128 v[108:111], v[112:113], off offset:4224
	global_load_b128 v[112:115], v153, s[8:9] offset:528
	global_load_b128 v[116:119], v153, s[8:9] offset:1056
	;; [unrolled: 1-line block ×7, first 2 shown]
	v_lshl_add_u32 v141, v163, 4, v164
	ds_load_b128 v[142:145], v255
	ds_load_b128 v[146:149], v255 offset:528
	ds_load_b128 v[150:153], v141 offset:1056
	;; [unrolled: 1-line block ×4, first 2 shown]
	v_mov_b32_e32 v234, v163
	ds_load_b128 v[163:166], v255 offset:2640
	ds_load_b128 v[167:170], v255 offset:3168
	;; [unrolled: 1-line block ×3, first 2 shown]
	s_mov_b32 s8, 0x667f3bcd
	s_mov_b32 s9, 0xbfe6a09e
	;; [unrolled: 1-line block ×3, first 2 shown]
	s_wait_alu 0xfffe
	s_mov_b32 s10, s8
	s_wait_loadcnt_dscnt 0x707
	v_mul_f64_e32 v[175:176], v[144:145], v[110:111]
	v_mul_f64_e32 v[110:111], v[142:143], v[110:111]
	s_wait_loadcnt_dscnt 0x606
	v_mul_f64_e32 v[177:178], v[148:149], v[114:115]
	v_mul_f64_e32 v[114:115], v[146:147], v[114:115]
	;; [unrolled: 3-line block ×8, first 2 shown]
	v_fma_f64 v[142:143], v[142:143], v[108:109], -v[175:176]
	v_fma_f64 v[144:145], v[144:145], v[108:109], v[110:111]
	v_fma_f64 v[108:109], v[146:147], v[112:113], -v[177:178]
	v_fma_f64 v[110:111], v[148:149], v[112:113], v[114:115]
	;; [unrolled: 2-line block ×8, first 2 shown]
	ds_store_b128 v255, v[142:145]
	ds_store_b128 v255, v[108:111] offset:528
	ds_store_b128 v255, v[116:119] offset:1584
	;; [unrolled: 1-line block ×7, first 2 shown]
	global_wb scope:SCOPE_SE
	s_wait_dscnt 0x0
	s_barrier_signal -1
	s_barrier_wait -1
	global_inv scope:SCOPE_SE
	ds_load_b128 v[108:111], v255
	ds_load_b128 v[112:115], v255 offset:2112
	ds_load_b128 v[116:119], v141 offset:1056
	;; [unrolled: 1-line block ×7, first 2 shown]
	global_wb scope:SCOPE_SE
	s_wait_dscnt 0x0
	s_barrier_signal -1
	s_barrier_wait -1
	global_inv scope:SCOPE_SE
	v_add_f64_e64 v[112:113], v[108:109], -v[112:113]
	v_add_f64_e64 v[114:115], v[110:111], -v[114:115]
	;; [unrolled: 1-line block ×8, first 2 shown]
	v_fma_f64 v[108:109], v[108:109], 2.0, -v[112:113]
	v_fma_f64 v[110:111], v[110:111], 2.0, -v[114:115]
	;; [unrolled: 1-line block ×6, first 2 shown]
	v_add_f64_e32 v[142:143], v[112:113], v[122:123]
	v_add_f64_e64 v[144:145], v[114:115], -v[120:121]
	v_fma_f64 v[120:121], v[132:133], 2.0, -v[136:137]
	v_fma_f64 v[122:123], v[134:135], 2.0, -v[138:139]
	v_add_f64_e32 v[132:133], v[124:125], v[138:139]
	v_add_f64_e64 v[134:135], v[126:127], -v[136:137]
	v_add_f64_e64 v[136:137], v[108:109], -v[116:117]
	;; [unrolled: 1-line block ×3, first 2 shown]
	v_fma_f64 v[146:147], v[112:113], 2.0, -v[142:143]
	v_fma_f64 v[148:149], v[114:115], 2.0, -v[144:145]
	v_add_f64_e64 v[112:113], v[128:129], -v[120:121]
	v_add_f64_e64 v[114:115], v[130:131], -v[122:123]
	v_fma_f64 v[118:119], v[124:125], 2.0, -v[132:133]
	v_fma_f64 v[116:117], v[126:127], 2.0, -v[134:135]
	s_wait_alu 0xfffe
	v_fma_f64 v[120:121], v[132:133], s[10:11], v[142:143]
	v_fma_f64 v[122:123], v[134:135], s[10:11], v[144:145]
	v_fma_f64 v[150:151], v[108:109], 2.0, -v[136:137]
	v_fma_f64 v[152:153], v[110:111], 2.0, -v[138:139]
	;; [unrolled: 1-line block ×4, first 2 shown]
	v_fma_f64 v[128:129], v[118:119], s[8:9], v[146:147]
	v_fma_f64 v[130:131], v[116:117], s[8:9], v[148:149]
	v_add_f64_e32 v[108:109], v[136:137], v[114:115]
	v_add_f64_e64 v[110:111], v[138:139], -v[112:113]
	v_fma_f64 v[120:121], v[134:135], s[10:11], v[120:121]
	v_fma_f64 v[122:123], v[132:133], s[8:9], v[122:123]
	v_add_f64_e64 v[112:113], v[150:151], -v[124:125]
	v_add_f64_e64 v[114:115], v[152:153], -v[126:127]
	v_fma_f64 v[116:117], v[116:117], s[10:11], v[128:129]
	v_fma_f64 v[118:119], v[118:119], s[8:9], v[130:131]
	v_fma_f64 v[124:125], v[136:137], 2.0, -v[108:109]
	v_fma_f64 v[126:127], v[138:139], 2.0, -v[110:111]
	;; [unrolled: 1-line block ×8, first 2 shown]
	ds_store_b128 v154, v[108:111] offset:96
	ds_store_b128 v154, v[120:123] offset:112
	;; [unrolled: 1-line block ×6, first 2 shown]
	ds_store_b128 v154, v[132:135]
	ds_store_b128 v154, v[136:139] offset:16
	global_wb scope:SCOPE_SE
	s_wait_dscnt 0x0
	s_barrier_signal -1
	s_barrier_wait -1
	global_inv scope:SCOPE_SE
	ds_load_b128 v[116:119], v255
	ds_load_b128 v[112:115], v255 offset:528
	ds_load_b128 v[132:135], v255 offset:1408
	;; [unrolled: 1-line block ×5, first 2 shown]
	s_and_saveexec_b32 s1, vcc_lo
	s_cbranch_execz .LBB0_11
; %bb.10:
	ds_load_b128 v[108:111], v141 offset:1056
	ds_load_b128 v[120:123], v255 offset:2464
	ds_load_b128 v[104:107], v255 offset:3872
.LBB0_11:
	s_wait_alu 0xfffe
	s_or_b32 exec_lo, exec_lo, s1
	s_wait_dscnt 0x3
	v_mul_f64_e32 v[142:143], v[70:71], v[134:135]
	s_wait_dscnt 0x1
	v_mul_f64_e32 v[144:145], v[66:67], v[138:139]
	v_mul_f64_e32 v[70:71], v[70:71], v[132:133]
	;; [unrolled: 1-line block ×4, first 2 shown]
	s_wait_dscnt 0x0
	v_mul_f64_e32 v[148:149], v[58:59], v[130:131]
	v_mul_f64_e32 v[62:63], v[62:63], v[124:125]
	;; [unrolled: 1-line block ×7, first 2 shown]
	s_mov_b32 s8, 0xe8584caa
	s_mov_b32 s9, 0xbfebb67a
	;; [unrolled: 1-line block ×3, first 2 shown]
	s_wait_alu 0xfffe
	s_mov_b32 s10, s8
	global_wb scope:SCOPE_SE
	s_barrier_signal -1
	s_barrier_wait -1
	global_inv scope:SCOPE_SE
	v_fma_f64 v[132:133], v[68:69], v[132:133], v[142:143]
	v_fma_f64 v[136:137], v[64:65], v[136:137], v[144:145]
	v_fma_f64 v[68:69], v[68:69], v[134:135], -v[70:71]
	v_fma_f64 v[64:65], v[64:65], v[138:139], -v[66:67]
	v_fma_f64 v[66:67], v[60:61], v[124:125], v[146:147]
	v_fma_f64 v[70:71], v[56:57], v[128:129], v[148:149]
	v_fma_f64 v[60:61], v[60:61], v[126:127], -v[62:63]
	v_fma_f64 v[62:63], v[56:57], v[130:131], -v[58:59]
	;; [unrolled: 4-line block ×3, first 2 shown]
	v_add_f64_e32 v[124:125], v[116:117], v[132:133]
	v_add_f64_e32 v[74:75], v[132:133], v[136:137]
	;; [unrolled: 1-line block ×3, first 2 shown]
	v_add_f64_e64 v[126:127], v[68:69], -v[64:65]
	v_add_f64_e32 v[78:79], v[66:67], v[70:71]
	v_add_f64_e32 v[68:69], v[118:119], v[68:69]
	;; [unrolled: 1-line block ×7, first 2 shown]
	v_add_f64_e64 v[146:147], v[58:59], -v[72:73]
	v_add_f64_e32 v[134:135], v[56:57], v[108:109]
	v_add_f64_e64 v[148:149], v[56:57], -v[104:105]
	v_add_f64_e32 v[128:129], v[112:113], v[66:67]
	;; [unrolled: 2-line block ×3, first 2 shown]
	v_fma_f64 v[74:75], v[74:75], -0.5, v[116:117]
	v_add_f64_e64 v[116:117], v[132:133], -v[136:137]
	v_fma_f64 v[118:119], v[76:77], -0.5, v[118:119]
	v_add_f64_e64 v[132:133], v[60:61], -v[62:63]
	v_fma_f64 v[142:143], v[78:79], -0.5, v[112:113]
	v_add_f64_e32 v[58:59], v[68:69], v[64:65]
	v_fma_f64 v[144:145], v[106:107], -0.5, v[114:115]
	v_add_f64_e32 v[62:63], v[130:131], v[62:63]
	;; [unrolled: 2-line block ×4, first 2 shown]
	v_add_f64_e32 v[60:61], v[128:129], v[70:71]
	v_fma_f64 v[76:77], v[126:127], s[8:9], v[74:75]
	s_wait_alu 0xfffe
	v_fma_f64 v[72:73], v[126:127], s[10:11], v[74:75]
	v_fma_f64 v[78:79], v[116:117], s[10:11], v[118:119]
	;; [unrolled: 1-line block ×3, first 2 shown]
	scratch_load_b32 v116, off, off offset:16 th:TH_LOAD_LU ; 4-byte Folded Reload
	v_fma_f64 v[104:105], v[132:133], s[8:9], v[142:143]
	v_fma_f64 v[108:109], v[132:133], s[10:11], v[142:143]
	;; [unrolled: 1-line block ×8, first 2 shown]
	s_wait_loadcnt 0x0
	ds_store_b128 v116, v[56:59]
	ds_store_b128 v116, v[76:79] offset:128
	ds_store_b128 v116, v[72:75] offset:256
	scratch_load_b32 v116, off, off offset:12 th:TH_LOAD_LU ; 4-byte Folded Reload
	s_wait_loadcnt 0x0
	ds_store_b128 v116, v[60:63]
	ds_store_b128 v116, v[104:107] offset:128
	ds_store_b128 v116, v[108:111] offset:256
	s_and_saveexec_b32 s1, vcc_lo
	s_cbranch_execz .LBB0_13
; %bb.12:
	s_clause 0x1
	scratch_load_b32 v116, off, off offset:8 th:TH_LOAD_LU
	scratch_load_b32 v117, off, off offset:4 th:TH_LOAD_LU
	s_wait_loadcnt 0x1
	v_mul_u32_u24_e32 v116, 24, v116
	s_wait_loadcnt 0x0
	s_delay_alu instid0(VALU_DEP_1)
	v_or_b32_e32 v116, v116, v117
	scratch_load_b32 v117, off, off th:TH_LOAD_LU ; 4-byte Folded Reload
	s_wait_loadcnt 0x0
	v_lshl_add_u32 v116, v116, 4, v117
	ds_store_b128 v116, v[112:115]
	ds_store_b128 v116, v[64:67] offset:128
	ds_store_b128 v116, v[68:71] offset:256
.LBB0_13:
	s_wait_alu 0xfffe
	s_or_b32 exec_lo, exec_lo, s1
	global_wb scope:SCOPE_SE
	s_wait_dscnt 0x0
	s_barrier_signal -1
	s_barrier_wait -1
	global_inv scope:SCOPE_SE
	s_and_saveexec_b32 s1, s0
	s_cbranch_execz .LBB0_15
; %bb.14:
	ds_load_b128 v[56:59], v255
	ds_load_b128 v[76:79], v255 offset:384
	ds_load_b128 v[72:75], v255 offset:768
	;; [unrolled: 1-line block ×10, first 2 shown]
.LBB0_15:
	s_wait_alu 0xfffe
	s_or_b32 exec_lo, exec_lo, s1
	s_and_saveexec_b32 s16, s0
	s_cbranch_execz .LBB0_17
; %bb.16:
	s_wait_dscnt 0x9
	v_mul_f64_e32 v[116:117], v[54:55], v[76:77]
	v_mul_f64_e32 v[54:55], v[54:55], v[78:79]
	s_wait_dscnt 0x2
	v_mul_f64_e32 v[128:129], v[46:47], v[70:71]
	v_mul_f64_e32 v[130:131], v[82:83], v[74:75]
	;; [unrolled: 1-line block ×11, first 2 shown]
	s_wait_dscnt 0x0
	v_mul_f64_e32 v[134:135], v[34:35], v[94:95]
	v_mul_f64_e32 v[50:51], v[50:51], v[64:65]
	;; [unrolled: 1-line block ×4, first 2 shown]
	s_mov_b32 s18, 0x43842ef
	s_mov_b32 s22, 0xbb3a28a1
	;; [unrolled: 1-line block ×11, first 2 shown]
	s_wait_alu 0xfffe
	s_mov_b32 s28, s24
	s_mov_b32 s14, 0x640f44db
	;; [unrolled: 1-line block ×10, first 2 shown]
	v_fma_f64 v[78:79], v[52:53], v[78:79], -v[116:117]
	v_fma_f64 v[52:53], v[52:53], v[76:77], v[54:55]
	v_mul_f64_e32 v[54:55], v[42:43], v[60:61]
	v_mul_f64_e32 v[76:77], v[46:47], v[68:69]
	v_fma_f64 v[42:43], v[44:45], v[68:69], v[128:129]
	v_fma_f64 v[68:69], v[80:81], v[72:73], v[130:131]
	v_fma_f64 v[72:73], v[80:81], v[74:75], -v[82:83]
	v_mul_f64_e32 v[116:117], v[38:39], v[96:97]
	v_fma_f64 v[108:109], v[88:89], v[108:109], v[118:119]
	v_fma_f64 v[112:113], v[100:101], v[112:113], v[120:121]
	v_fma_f64 v[88:89], v[88:89], v[110:111], -v[90:91]
	v_fma_f64 v[90:91], v[100:101], v[114:115], -v[102:103]
	v_fma_f64 v[100:101], v[84:85], v[104:105], v[122:123]
	v_fma_f64 v[46:47], v[48:49], v[64:65], v[124:125]
	v_fma_f64 v[64:65], v[84:85], v[106:107], -v[86:87]
	v_fma_f64 v[60:61], v[40:41], v[60:61], v[126:127]
	v_fma_f64 v[34:35], v[32:33], v[92:93], v[134:135]
	v_fma_f64 v[48:49], v[48:49], v[66:67], -v[50:51]
	v_fma_f64 v[32:33], v[32:33], v[94:95], -v[136:137]
	v_fma_f64 v[38:39], v[36:37], v[96:97], v[132:133]
	s_mov_b32 s35, 0x3fd207e7
	s_mov_b32 s30, s18
	;; [unrolled: 1-line block ×5, first 2 shown]
	v_add_f64_e32 v[74:75], v[58:59], v[78:79]
	v_add_f64_e32 v[80:81], v[56:57], v[52:53]
	v_fma_f64 v[40:41], v[40:41], v[62:63], -v[54:55]
	v_fma_f64 v[44:45], v[44:45], v[70:71], -v[76:77]
	;; [unrolled: 1-line block ×3, first 2 shown]
	v_add_f64_e64 v[50:51], v[108:109], -v[112:113]
	v_add_f64_e32 v[102:103], v[108:109], v[112:113]
	v_add_f64_e32 v[94:95], v[88:89], v[90:91]
	v_add_f64_e64 v[54:55], v[100:101], -v[46:47]
	v_add_f64_e32 v[104:105], v[46:47], v[100:101]
	v_add_f64_e64 v[62:63], v[60:61], -v[42:43]
	v_add_f64_e64 v[70:71], v[52:53], -v[34:35]
	;; [unrolled: 1-line block ×4, first 2 shown]
	v_add_f64_e32 v[106:107], v[42:43], v[60:61]
	v_add_f64_e64 v[66:67], v[68:69], -v[38:39]
	v_add_f64_e32 v[78:79], v[32:33], v[78:79]
	v_add_f64_e32 v[52:53], v[34:35], v[52:53]
	v_add_f64_e32 v[96:97], v[48:49], v[64:65]
	v_add_f64_e32 v[74:75], v[72:73], v[74:75]
	v_add_f64_e32 v[76:77], v[68:69], v[80:81]
	v_add_f64_e64 v[80:81], v[88:89], -v[90:91]
	v_add_f64_e64 v[84:85], v[40:41], -v[44:45]
	v_add_f64_e32 v[98:99], v[44:45], v[40:41]
	v_add_f64_e32 v[68:69], v[68:69], v[38:39]
	v_add_f64_e64 v[86:87], v[72:73], -v[36:37]
	v_add_f64_e32 v[72:73], v[72:73], v[36:37]
	v_mul_f64_e32 v[128:129], s[20:21], v[50:51]
	v_mul_f64_e32 v[110:111], s[18:19], v[50:51]
	;; [unrolled: 1-line block ×12, first 2 shown]
	s_wait_alu 0xfffe
	v_mul_f64_e32 v[186:187], s[28:29], v[70:71]
	v_mul_f64_e32 v[188:189], s[28:29], v[92:93]
	;; [unrolled: 1-line block ×17, first 2 shown]
	v_add_f64_e32 v[40:41], v[40:41], v[74:75]
	v_add_f64_e32 v[60:61], v[60:61], v[76:77]
	v_mul_f64_e32 v[76:77], s[20:21], v[82:83]
	v_mul_f64_e32 v[138:139], s[20:21], v[80:81]
	;; [unrolled: 1-line block ×3, first 2 shown]
	s_mov_b32 s21, 0xbfed1bb4
	v_mul_f64_e32 v[122:123], s[22:23], v[84:85]
	v_mul_f64_e32 v[124:125], s[24:25], v[86:87]
	;; [unrolled: 1-line block ×5, first 2 shown]
	s_wait_alu 0xfffe
	v_mul_f64_e32 v[66:67], s[20:21], v[66:67]
	v_mul_f64_e32 v[86:87], s[20:21], v[86:87]
	;; [unrolled: 1-line block ×5, first 2 shown]
	v_fma_f64 v[194:195], v[78:79], s[8:9], v[120:121]
	v_fma_f64 v[120:121], v[78:79], s[8:9], -v[120:121]
	v_fma_f64 v[204:205], v[52:53], s[8:9], -v[126:127]
	v_fma_f64 v[126:127], v[52:53], s[8:9], v[126:127]
	v_fma_f64 v[206:207], v[78:79], s[12:13], v[136:137]
	v_fma_f64 v[208:209], v[52:53], s[12:13], -v[148:149]
	v_fma_f64 v[210:211], v[78:79], s[14:15], -v[158:159]
	;; [unrolled: 1-line block ×3, first 2 shown]
	v_fma_f64 v[214:215], v[52:53], s[10:11], v[188:189]
	v_fma_f64 v[216:217], v[52:53], s[14:15], v[168:169]
	v_fma_f64 v[136:137], v[78:79], s[12:13], -v[136:137]
	v_fma_f64 v[148:149], v[52:53], s[12:13], v[148:149]
	v_fma_f64 v[158:159], v[78:79], s[14:15], v[158:159]
	v_fma_f64 v[168:169], v[52:53], s[14:15], -v[168:169]
	;; [unrolled: 3-line block ×3, first 2 shown]
	v_fma_f64 v[218:219], v[72:73], s[8:9], v[156:157]
	v_fma_f64 v[156:157], v[72:73], s[8:9], -v[156:157]
	v_fma_f64 v[222:223], v[72:73], s[12:13], v[176:177]
	v_fma_f64 v[176:177], v[72:73], s[12:13], -v[176:177]
	v_mul_f64_e32 v[82:83], s[22:23], v[82:83]
	v_add_f64_e32 v[40:41], v[64:65], v[40:41]
	v_add_f64_e32 v[60:61], v[100:101], v[60:61]
	v_mul_f64_e32 v[64:65], s[20:21], v[70:71]
	v_mul_f64_e32 v[70:71], s[20:21], v[92:93]
	v_fma_f64 v[190:191], v[98:99], s[12:13], v[116:117]
	v_fma_f64 v[116:117], v[98:99], s[12:13], -v[116:117]
	v_fma_f64 v[200:201], v[106:107], s[12:13], -v[122:123]
	;; [unrolled: 1-line block ×3, first 2 shown]
	v_fma_f64 v[124:125], v[68:69], s[10:11], v[124:125]
	v_fma_f64 v[220:221], v[68:69], s[8:9], -v[166:167]
	v_fma_f64 v[166:167], v[68:69], s[8:9], v[166:167]
	v_fma_f64 v[224:225], v[68:69], s[12:13], -v[184:185]
	v_fma_f64 v[184:185], v[68:69], s[12:13], v[184:185]
	v_fma_f64 v[226:227], v[72:73], s[0:1], v[66:67]
	v_fma_f64 v[228:229], v[68:69], s[0:1], -v[86:87]
	v_fma_f64 v[66:67], v[72:73], s[0:1], -v[66:67]
	v_fma_f64 v[122:123], v[106:107], s[12:13], v[122:123]
	v_add_f64_e32 v[120:121], v[58:59], v[120:121]
	v_fma_f64 v[230:231], v[98:99], s[14:15], v[62:63]
	v_add_f64_e32 v[126:127], v[56:57], v[126:127]
	v_fma_f64 v[232:233], v[106:107], s[14:15], -v[84:85]
	v_fma_f64 v[62:63], v[98:99], s[14:15], -v[62:63]
	v_fma_f64 v[84:85], v[106:107], s[14:15], v[84:85]
	v_mul_f64_e32 v[50:51], s[26:27], v[50:51]
	v_fma_f64 v[100:101], v[96:97], s[0:1], v[114:115]
	v_fma_f64 v[198:199], v[104:105], s[0:1], -v[76:77]
	v_add_f64_e32 v[136:137], v[58:59], v[136:137]
	v_fma_f64 v[114:115], v[96:97], s[0:1], -v[114:115]
	v_fma_f64 v[76:77], v[104:105], s[0:1], v[76:77]
	v_mul_f64_e32 v[74:75], s[18:19], v[80:81]
	v_mul_f64_e32 v[160:161], s[22:23], v[80:81]
	;; [unrolled: 1-line block ×4, first 2 shown]
	v_fma_f64 v[92:93], v[94:95], s[14:15], v[110:111]
	v_fma_f64 v[110:111], v[94:95], s[14:15], -v[110:111]
	v_add_f64_e32 v[40:41], v[88:89], v[40:41]
	v_add_f64_e32 v[60:61], v[108:109], v[60:61]
	v_fma_f64 v[88:89], v[78:79], s[0:1], -v[64:65]
	v_fma_f64 v[108:109], v[52:53], s[0:1], v[70:71]
	v_fma_f64 v[64:65], v[78:79], s[0:1], v[64:65]
	v_fma_f64 v[70:71], v[52:53], s[0:1], -v[70:71]
	v_fma_f64 v[52:53], v[52:53], s[10:11], -v[188:189]
	v_fma_f64 v[78:79], v[72:73], s[14:15], v[134:135]
	v_fma_f64 v[188:189], v[68:69], s[14:15], -v[146:147]
	v_fma_f64 v[134:135], v[72:73], s[14:15], -v[134:135]
	v_fma_f64 v[146:147], v[68:69], s[14:15], v[146:147]
	v_fma_f64 v[68:69], v[68:69], s[0:1], v[86:87]
	v_add_f64_e32 v[72:73], v[58:59], v[194:195]
	v_add_f64_e32 v[86:87], v[56:57], v[204:205]
	;; [unrolled: 1-line block ×7, first 2 shown]
	v_fma_f64 v[212:213], v[106:107], s[0:1], -v[164:165]
	v_fma_f64 v[164:165], v[106:107], s[0:1], v[164:165]
	v_fma_f64 v[214:215], v[98:99], s[8:9], v[174:175]
	v_fma_f64 v[174:175], v[98:99], s[8:9], -v[174:175]
	v_fma_f64 v[196:197], v[102:103], s[14:15], -v[74:75]
	v_fma_f64 v[74:75], v[102:103], s[14:15], v[74:75]
	v_add_f64_e32 v[40:41], v[90:91], v[40:41]
	v_add_f64_e32 v[60:61], v[112:113], v[60:61]
	;; [unrolled: 1-line block ×12, first 2 shown]
	v_fma_f64 v[56:57], v[98:99], s[10:11], v[132:133]
	v_fma_f64 v[70:71], v[106:107], s[10:11], -v[144:145]
	v_fma_f64 v[132:133], v[98:99], s[10:11], -v[132:133]
	v_fma_f64 v[144:145], v[106:107], s[10:11], v[144:145]
	v_fma_f64 v[186:187], v[98:99], s[0:1], v[154:155]
	v_fma_f64 v[154:155], v[98:99], s[0:1], -v[154:155]
	v_fma_f64 v[216:217], v[106:107], s[8:9], -v[182:183]
	v_fma_f64 v[182:183], v[106:107], s[8:9], v[182:183]
	v_add_f64_e32 v[98:99], v[118:119], v[120:121]
	v_add_f64_e32 v[106:107], v[124:125], v[126:127]
	;; [unrolled: 1-line block ×10, first 2 shown]
	v_fma_f64 v[134:135], v[96:97], s[8:9], v[130:131]
	v_fma_f64 v[130:131], v[96:97], s[8:9], -v[130:131]
	v_fma_f64 v[136:137], v[104:105], s[8:9], -v[142:143]
	v_fma_f64 v[142:143], v[104:105], s[8:9], v[142:143]
	v_fma_f64 v[156:157], v[104:105], s[10:11], v[162:163]
	v_add_f64_e32 v[40:41], v[48:49], v[40:41]
	v_add_f64_e32 v[46:47], v[46:47], v[60:61]
	;; [unrolled: 1-line block ×12, first 2 shown]
	v_fma_f64 v[146:147], v[96:97], s[10:11], v[152:153]
	v_fma_f64 v[152:153], v[96:97], s[10:11], -v[152:153]
	v_fma_f64 v[158:159], v[96:97], s[14:15], v[172:173]
	v_fma_f64 v[166:167], v[96:97], s[14:15], -v[172:173]
	;; [unrolled: 2-line block ×3, first 2 shown]
	v_fma_f64 v[54:55], v[96:97], s[12:13], -v[54:55]
	v_fma_f64 v[82:83], v[104:105], s[12:13], v[82:83]
	v_add_f64_e32 v[96:97], v[116:117], v[98:99]
	v_add_f64_e32 v[98:99], v[122:123], v[106:107]
	;; [unrolled: 1-line block ×5, first 2 shown]
	v_fma_f64 v[168:169], v[104:105], s[14:15], v[180:181]
	v_add_f64_e32 v[72:73], v[190:191], v[72:73]
	v_fma_f64 v[148:149], v[104:105], s[10:11], -v[162:163]
	v_fma_f64 v[162:163], v[104:105], s[14:15], -v[180:181]
	v_add_f64_e32 v[86:87], v[200:201], v[86:87]
	v_add_f64_e32 v[104:105], v[154:155], v[124:125]
	v_add_f64_e32 v[78:79], v[132:133], v[120:121]
	v_add_f64_e32 v[70:71], v[70:71], v[118:119]
	v_fma_f64 v[106:107], v[102:103], s[0:1], -v[138:139]
	v_fma_f64 v[116:117], v[94:95], s[12:13], v[150:151]
	v_fma_f64 v[120:121], v[94:95], s[12:13], -v[150:151]
	v_fma_f64 v[124:125], v[94:95], s[10:11], v[170:171]
	v_fma_f64 v[118:119], v[102:103], s[12:13], -v[160:161]
	v_add_f64_e32 v[40:41], v[44:45], v[40:41]
	v_add_f64_e32 v[42:43], v[42:43], v[46:47]
	;; [unrolled: 1-line block ×12, first 2 shown]
	v_fma_f64 v[90:91], v[94:95], s[0:1], v[128:129]
	v_fma_f64 v[108:109], v[94:95], s[0:1], -v[128:129]
	v_fma_f64 v[112:113], v[102:103], s[0:1], v[138:139]
	v_fma_f64 v[128:129], v[94:95], s[10:11], -v[170:171]
	;; [unrolled: 2-line block ×3, first 2 shown]
	v_fma_f64 v[144:145], v[102:103], s[8:9], -v[80:81]
	v_fma_f64 v[80:81], v[102:103], s[8:9], v[80:81]
	v_fma_f64 v[122:123], v[102:103], s[12:13], v[160:161]
	v_add_f64_e32 v[76:77], v[76:77], v[98:99]
	v_add_f64_e32 v[62:63], v[54:55], v[62:63]
	;; [unrolled: 1-line block ×4, first 2 shown]
	v_fma_f64 v[126:127], v[102:103], s[10:11], -v[178:179]
	v_fma_f64 v[132:133], v[102:103], s[10:11], v[178:179]
	v_add_f64_e32 v[50:51], v[100:101], v[72:73]
	v_add_f64_e32 v[72:73], v[198:199], v[86:87]
	;; [unrolled: 1-line block ×40, first 2 shown]
	ds_store_b128 v255, v[60:63]
	ds_store_b128 v141, v[56:59] offset:384
	ds_store_b128 v141, v[32:35] offset:768
	;; [unrolled: 1-line block ×10, first 2 shown]
.LBB0_17:
	s_wait_alu 0xfffe
	s_or_b32 exec_lo, exec_lo, s16
	global_wb scope:SCOPE_SE
	s_wait_dscnt 0x0
	s_barrier_signal -1
	s_barrier_wait -1
	global_inv scope:SCOPE_SE
	ds_load_b128 v[32:35], v255
	ds_load_b128 v[36:39], v255 offset:528
	ds_load_b128 v[40:43], v141 offset:1056
	;; [unrolled: 1-line block ×7, first 2 shown]
	s_clause 0x3
	scratch_load_b128 v[0:3], off, off offset:20 th:TH_LOAD_LU
	scratch_load_b128 v[4:7], off, off offset:36 th:TH_LOAD_LU
	;; [unrolled: 1-line block ×4, first 2 shown]
	v_mad_co_u64_u32 v[80:81], null, s6, v140, 0
	v_mad_co_u64_u32 v[82:83], null, s4, v234, 0
	s_mov_b32 s0, 0xf07c1f08
	s_mov_b32 s1, 0x3f6f07c1
	s_delay_alu instid0(VALU_DEP_1)
	v_mad_co_u64_u32 v[84:85], null, s7, v140, v[81:82]
	s_wait_dscnt 0x3
	v_mul_f64_e32 v[72:73], v[18:19], v[50:51]
	v_mul_f64_e32 v[18:19], v[18:19], v[48:49]
	s_wait_dscnt 0x2
	v_mul_f64_e32 v[74:75], v[22:23], v[54:55]
	v_mul_f64_e32 v[22:23], v[22:23], v[52:53]
	s_wait_dscnt 0x1
	v_mul_f64_e32 v[76:77], v[26:27], v[58:59]
	v_mul_f64_e32 v[26:27], v[26:27], v[56:57]
	s_wait_dscnt 0x0
	v_mul_f64_e32 v[78:79], v[30:31], v[62:63]
	v_mul_f64_e32 v[30:31], v[30:31], v[60:61]
	v_mad_co_u64_u32 v[85:86], null, s5, v234, v[83:84]
	v_mov_b32_e32 v81, v84
	s_delay_alu instid0(VALU_DEP_2)
	v_mov_b32_e32 v83, v85
	v_fma_f64 v[18:19], v[16:17], v[50:51], -v[18:19]
	v_fma_f64 v[22:23], v[20:21], v[54:55], -v[22:23]
	;; [unrolled: 1-line block ×4, first 2 shown]
	s_wait_alu 0xfffe
	s_delay_alu instid0(VALU_DEP_4) | instskip(NEXT) | instid1(VALU_DEP_4)
	v_mul_f64_e32 v[18:19], s[0:1], v[18:19]
	v_mul_f64_e32 v[22:23], s[0:1], v[22:23]
	s_delay_alu instid0(VALU_DEP_4) | instskip(NEXT) | instid1(VALU_DEP_4)
	v_mul_f64_e32 v[26:27], s[0:1], v[26:27]
	v_mul_f64_e32 v[30:31], s[0:1], v[30:31]
	s_wait_loadcnt 0x3
	v_mul_f64_e32 v[64:65], v[2:3], v[34:35]
	v_mul_f64_e32 v[2:3], v[2:3], v[32:33]
	s_wait_loadcnt 0x2
	;; [unrolled: 3-line block ×4, first 2 shown]
	v_mul_f64_e32 v[70:71], v[14:15], v[46:47]
	v_mul_f64_e32 v[14:15], v[14:15], v[44:45]
	v_fma_f64 v[32:33], v[0:1], v[32:33], v[64:65]
	v_fma_f64 v[2:3], v[0:1], v[34:35], -v[2:3]
	v_fma_f64 v[34:35], v[4:5], v[36:37], v[66:67]
	v_fma_f64 v[6:7], v[4:5], v[38:39], -v[6:7]
	;; [unrolled: 2-line block ×4, first 2 shown]
	v_fma_f64 v[40:41], v[16:17], v[48:49], v[72:73]
	v_fma_f64 v[42:43], v[20:21], v[52:53], v[74:75]
	;; [unrolled: 1-line block ×4, first 2 shown]
	v_lshlrev_b64_e32 v[0:1], 4, v[80:81]
	v_lshlrev_b64_e32 v[4:5], 4, v[82:83]
	s_delay_alu instid0(VALU_DEP_2) | instskip(SKIP_1) | instid1(VALU_DEP_3)
	v_add_co_u32 v0, vcc_lo, s2, v0
	s_wait_alu 0xfffd
	v_add_co_ci_u32_e32 v1, vcc_lo, s3, v1, vcc_lo
	s_mul_u64 s[2:3], s[4:5], 0x210
	s_delay_alu instid0(VALU_DEP_2) | instskip(SKIP_1) | instid1(VALU_DEP_2)
	v_add_co_u32 v48, vcc_lo, v0, v4
	s_wait_alu 0xfffd
	v_add_co_ci_u32_e32 v49, vcc_lo, v1, v5, vcc_lo
	v_mul_f64_e32 v[0:1], s[0:1], v[32:33]
	v_mul_f64_e32 v[2:3], s[0:1], v[2:3]
	;; [unrolled: 1-line block ×11, first 2 shown]
	s_wait_alu 0xfffe
	v_add_co_u32 v32, vcc_lo, v48, s2
	v_mul_f64_e32 v[28:29], s[0:1], v[46:47]
	s_wait_alu 0xfffd
	v_add_co_ci_u32_e32 v33, vcc_lo, s3, v49, vcc_lo
	s_delay_alu instid0(VALU_DEP_3) | instskip(SKIP_1) | instid1(VALU_DEP_2)
	v_add_co_u32 v34, vcc_lo, v32, s2
	s_wait_alu 0xfffd
	v_add_co_ci_u32_e32 v35, vcc_lo, s3, v33, vcc_lo
	s_delay_alu instid0(VALU_DEP_2) | instskip(SKIP_1) | instid1(VALU_DEP_2)
	v_add_co_u32 v36, vcc_lo, v34, s2
	s_wait_alu 0xfffd
	v_add_co_ci_u32_e32 v37, vcc_lo, s3, v35, vcc_lo
	s_delay_alu instid0(VALU_DEP_2) | instskip(SKIP_1) | instid1(VALU_DEP_2)
	;; [unrolled: 4-line block ×5, first 2 shown]
	v_add_co_u32 v44, vcc_lo, v42, s2
	s_wait_alu 0xfffd
	v_add_co_ci_u32_e32 v45, vcc_lo, s3, v43, vcc_lo
	s_clause 0x4
	global_store_b128 v[48:49], v[0:3], off
	global_store_b128 v[32:33], v[4:7], off
	global_store_b128 v[34:35], v[8:11], off
	global_store_b128 v[36:37], v[12:15], off
	global_store_b128 v[38:39], v[16:19], off
	global_store_b128 v[40:41], v[20:23], off
	global_store_b128 v[42:43], v[24:27], off
	global_store_b128 v[44:45], v[28:31], off
.LBB0_18:
	s_nop 0
	s_sendmsg sendmsg(MSG_DEALLOC_VGPRS)
	s_endpgm
	.section	.rodata,"a",@progbits
	.p2align	6, 0x0
	.amdhsa_kernel bluestein_single_back_len264_dim1_dp_op_CI_CI
		.amdhsa_group_segment_fixed_size 29568
		.amdhsa_private_segment_fixed_size 124
		.amdhsa_kernarg_size 104
		.amdhsa_user_sgpr_count 2
		.amdhsa_user_sgpr_dispatch_ptr 0
		.amdhsa_user_sgpr_queue_ptr 0
		.amdhsa_user_sgpr_kernarg_segment_ptr 1
		.amdhsa_user_sgpr_dispatch_id 0
		.amdhsa_user_sgpr_private_segment_size 0
		.amdhsa_wavefront_size32 1
		.amdhsa_uses_dynamic_stack 0
		.amdhsa_enable_private_segment 1
		.amdhsa_system_sgpr_workgroup_id_x 1
		.amdhsa_system_sgpr_workgroup_id_y 0
		.amdhsa_system_sgpr_workgroup_id_z 0
		.amdhsa_system_sgpr_workgroup_info 0
		.amdhsa_system_vgpr_workitem_id 0
		.amdhsa_next_free_vgpr 256
		.amdhsa_next_free_sgpr 42
		.amdhsa_reserve_vcc 1
		.amdhsa_float_round_mode_32 0
		.amdhsa_float_round_mode_16_64 0
		.amdhsa_float_denorm_mode_32 3
		.amdhsa_float_denorm_mode_16_64 3
		.amdhsa_fp16_overflow 0
		.amdhsa_workgroup_processor_mode 1
		.amdhsa_memory_ordered 1
		.amdhsa_forward_progress 0
		.amdhsa_round_robin_scheduling 0
		.amdhsa_exception_fp_ieee_invalid_op 0
		.amdhsa_exception_fp_denorm_src 0
		.amdhsa_exception_fp_ieee_div_zero 0
		.amdhsa_exception_fp_ieee_overflow 0
		.amdhsa_exception_fp_ieee_underflow 0
		.amdhsa_exception_fp_ieee_inexact 0
		.amdhsa_exception_int_div_zero 0
	.end_amdhsa_kernel
	.text
.Lfunc_end0:
	.size	bluestein_single_back_len264_dim1_dp_op_CI_CI, .Lfunc_end0-bluestein_single_back_len264_dim1_dp_op_CI_CI
                                        ; -- End function
	.section	.AMDGPU.csdata,"",@progbits
; Kernel info:
; codeLenInByte = 10896
; NumSgprs: 44
; NumVgprs: 256
; ScratchSize: 124
; MemoryBound: 0
; FloatMode: 240
; IeeeMode: 1
; LDSByteSize: 29568 bytes/workgroup (compile time only)
; SGPRBlocks: 5
; VGPRBlocks: 31
; NumSGPRsForWavesPerEU: 44
; NumVGPRsForWavesPerEU: 256
; Occupancy: 5
; WaveLimiterHint : 1
; COMPUTE_PGM_RSRC2:SCRATCH_EN: 1
; COMPUTE_PGM_RSRC2:USER_SGPR: 2
; COMPUTE_PGM_RSRC2:TRAP_HANDLER: 0
; COMPUTE_PGM_RSRC2:TGID_X_EN: 1
; COMPUTE_PGM_RSRC2:TGID_Y_EN: 0
; COMPUTE_PGM_RSRC2:TGID_Z_EN: 0
; COMPUTE_PGM_RSRC2:TIDIG_COMP_CNT: 0
	.text
	.p2alignl 7, 3214868480
	.fill 96, 4, 3214868480
	.type	__hip_cuid_d19d3a2f17cb8de6,@object ; @__hip_cuid_d19d3a2f17cb8de6
	.section	.bss,"aw",@nobits
	.globl	__hip_cuid_d19d3a2f17cb8de6
__hip_cuid_d19d3a2f17cb8de6:
	.byte	0                               ; 0x0
	.size	__hip_cuid_d19d3a2f17cb8de6, 1

	.ident	"AMD clang version 19.0.0git (https://github.com/RadeonOpenCompute/llvm-project roc-6.4.0 25133 c7fe45cf4b819c5991fe208aaa96edf142730f1d)"
	.section	".note.GNU-stack","",@progbits
	.addrsig
	.addrsig_sym __hip_cuid_d19d3a2f17cb8de6
	.amdgpu_metadata
---
amdhsa.kernels:
  - .args:
      - .actual_access:  read_only
        .address_space:  global
        .offset:         0
        .size:           8
        .value_kind:     global_buffer
      - .actual_access:  read_only
        .address_space:  global
        .offset:         8
        .size:           8
        .value_kind:     global_buffer
      - .actual_access:  read_only
        .address_space:  global
        .offset:         16
        .size:           8
        .value_kind:     global_buffer
      - .actual_access:  read_only
        .address_space:  global
        .offset:         24
        .size:           8
        .value_kind:     global_buffer
      - .actual_access:  read_only
        .address_space:  global
        .offset:         32
        .size:           8
        .value_kind:     global_buffer
      - .offset:         40
        .size:           8
        .value_kind:     by_value
      - .address_space:  global
        .offset:         48
        .size:           8
        .value_kind:     global_buffer
      - .address_space:  global
        .offset:         56
        .size:           8
        .value_kind:     global_buffer
      - .address_space:  global
        .offset:         64
        .size:           8
        .value_kind:     global_buffer
      - .address_space:  global
        .offset:         72
        .size:           8
        .value_kind:     global_buffer
      - .offset:         80
        .size:           4
        .value_kind:     by_value
      - .address_space:  global
        .offset:         88
        .size:           8
        .value_kind:     global_buffer
      - .address_space:  global
        .offset:         96
        .size:           8
        .value_kind:     global_buffer
    .group_segment_fixed_size: 29568
    .kernarg_segment_align: 8
    .kernarg_segment_size: 104
    .language:       OpenCL C
    .language_version:
      - 2
      - 0
    .max_flat_workgroup_size: 231
    .name:           bluestein_single_back_len264_dim1_dp_op_CI_CI
    .private_segment_fixed_size: 124
    .sgpr_count:     44
    .sgpr_spill_count: 0
    .symbol:         bluestein_single_back_len264_dim1_dp_op_CI_CI.kd
    .uniform_work_group_size: 1
    .uses_dynamic_stack: false
    .vgpr_count:     256
    .vgpr_spill_count: 30
    .wavefront_size: 32
    .workgroup_processor_mode: 1
amdhsa.target:   amdgcn-amd-amdhsa--gfx1201
amdhsa.version:
  - 1
  - 2
...

	.end_amdgpu_metadata
